;; amdgpu-corpus repo=ROCm/rocSPARSE kind=compiled arch=gfx906 opt=O3
	.amdgcn_target "amdgcn-amd-amdhsa--gfx906"
	.amdhsa_code_object_version 6
	.section	.text._ZN9rocsparseL23nnz_total_device_kernelEiPKiPi,"axG",@progbits,_ZN9rocsparseL23nnz_total_device_kernelEiPKiPi,comdat
	.globl	_ZN9rocsparseL23nnz_total_device_kernelEiPKiPi ; -- Begin function _ZN9rocsparseL23nnz_total_device_kernelEiPKiPi
	.p2align	8
	.type	_ZN9rocsparseL23nnz_total_device_kernelEiPKiPi,@function
_ZN9rocsparseL23nnz_total_device_kernelEiPKiPi: ; @_ZN9rocsparseL23nnz_total_device_kernelEiPKiPi
; %bb.0:
	s_cmp_lg_u32 0, 0
	s_cbranch_scc0 .LBB0_2
; %bb.1:
	s_endpgm
.LBB0_2:
	s_load_dword s6, s[4:5], 0x0
	s_load_dwordx4 s[0:3], s[4:5], 0x8
	v_mov_b32_e32 v0, 0
	s_waitcnt lgkmcnt(0)
	s_ashr_i32 s7, s6, 31
	s_lshl_b64 s[4:5], s[6:7], 2
	s_add_u32 s4, s0, s4
	s_addc_u32 s5, s1, s5
	s_load_dword s6, s[4:5], 0x0
	s_load_dword s7, s[0:1], 0x0
	s_waitcnt lgkmcnt(0)
	s_sub_i32 s0, s6, s7
	v_mov_b32_e32 v1, s0
	global_store_dword v0, v1, s[2:3]
	s_endpgm
	.section	.rodata,"a",@progbits
	.p2align	6, 0x0
	.amdhsa_kernel _ZN9rocsparseL23nnz_total_device_kernelEiPKiPi
		.amdhsa_group_segment_fixed_size 0
		.amdhsa_private_segment_fixed_size 0
		.amdhsa_kernarg_size 24
		.amdhsa_user_sgpr_count 6
		.amdhsa_user_sgpr_private_segment_buffer 1
		.amdhsa_user_sgpr_dispatch_ptr 0
		.amdhsa_user_sgpr_queue_ptr 0
		.amdhsa_user_sgpr_kernarg_segment_ptr 1
		.amdhsa_user_sgpr_dispatch_id 0
		.amdhsa_user_sgpr_flat_scratch_init 0
		.amdhsa_user_sgpr_private_segment_size 0
		.amdhsa_uses_dynamic_stack 0
		.amdhsa_system_sgpr_private_segment_wavefront_offset 0
		.amdhsa_system_sgpr_workgroup_id_x 1
		.amdhsa_system_sgpr_workgroup_id_y 0
		.amdhsa_system_sgpr_workgroup_id_z 0
		.amdhsa_system_sgpr_workgroup_info 0
		.amdhsa_system_vgpr_workitem_id 0
		.amdhsa_next_free_vgpr 2
		.amdhsa_next_free_sgpr 8
		.amdhsa_reserve_vcc 0
		.amdhsa_reserve_flat_scratch 0
		.amdhsa_float_round_mode_32 0
		.amdhsa_float_round_mode_16_64 0
		.amdhsa_float_denorm_mode_32 3
		.amdhsa_float_denorm_mode_16_64 3
		.amdhsa_dx10_clamp 1
		.amdhsa_ieee_mode 1
		.amdhsa_fp16_overflow 0
		.amdhsa_exception_fp_ieee_invalid_op 0
		.amdhsa_exception_fp_denorm_src 0
		.amdhsa_exception_fp_ieee_div_zero 0
		.amdhsa_exception_fp_ieee_overflow 0
		.amdhsa_exception_fp_ieee_underflow 0
		.amdhsa_exception_fp_ieee_inexact 0
		.amdhsa_exception_int_div_zero 0
	.end_amdhsa_kernel
	.section	.text._ZN9rocsparseL23nnz_total_device_kernelEiPKiPi,"axG",@progbits,_ZN9rocsparseL23nnz_total_device_kernelEiPKiPi,comdat
.Lfunc_end0:
	.size	_ZN9rocsparseL23nnz_total_device_kernelEiPKiPi, .Lfunc_end0-_ZN9rocsparseL23nnz_total_device_kernelEiPKiPi
                                        ; -- End function
	.set _ZN9rocsparseL23nnz_total_device_kernelEiPKiPi.num_vgpr, 2
	.set _ZN9rocsparseL23nnz_total_device_kernelEiPKiPi.num_agpr, 0
	.set _ZN9rocsparseL23nnz_total_device_kernelEiPKiPi.numbered_sgpr, 8
	.set _ZN9rocsparseL23nnz_total_device_kernelEiPKiPi.num_named_barrier, 0
	.set _ZN9rocsparseL23nnz_total_device_kernelEiPKiPi.private_seg_size, 0
	.set _ZN9rocsparseL23nnz_total_device_kernelEiPKiPi.uses_vcc, 0
	.set _ZN9rocsparseL23nnz_total_device_kernelEiPKiPi.uses_flat_scratch, 0
	.set _ZN9rocsparseL23nnz_total_device_kernelEiPKiPi.has_dyn_sized_stack, 0
	.set _ZN9rocsparseL23nnz_total_device_kernelEiPKiPi.has_recursion, 0
	.set _ZN9rocsparseL23nnz_total_device_kernelEiPKiPi.has_indirect_call, 0
	.section	.AMDGPU.csdata,"",@progbits
; Kernel info:
; codeLenInByte = 92
; TotalNumSgprs: 12
; NumVgprs: 2
; ScratchSize: 0
; MemoryBound: 0
; FloatMode: 240
; IeeeMode: 1
; LDSByteSize: 0 bytes/workgroup (compile time only)
; SGPRBlocks: 1
; VGPRBlocks: 0
; NumSGPRsForWavesPerEU: 12
; NumVGPRsForWavesPerEU: 2
; Occupancy: 10
; WaveLimiterHint : 0
; COMPUTE_PGM_RSRC2:SCRATCH_EN: 0
; COMPUTE_PGM_RSRC2:USER_SGPR: 6
; COMPUTE_PGM_RSRC2:TRAP_HANDLER: 0
; COMPUTE_PGM_RSRC2:TGID_X_EN: 1
; COMPUTE_PGM_RSRC2:TGID_Y_EN: 0
; COMPUTE_PGM_RSRC2:TGID_Z_EN: 0
; COMPUTE_PGM_RSRC2:TIDIG_COMP_CNT: 0
	.section	.text._ZN9rocsparseL10abs_kernelILi256EfEEviiPKT0_lPS1_,"axG",@progbits,_ZN9rocsparseL10abs_kernelILi256EfEEviiPKT0_lPS1_,comdat
	.globl	_ZN9rocsparseL10abs_kernelILi256EfEEviiPKT0_lPS1_ ; -- Begin function _ZN9rocsparseL10abs_kernelILi256EfEEviiPKT0_lPS1_
	.p2align	8
	.type	_ZN9rocsparseL10abs_kernelILi256EfEEviiPKT0_lPS1_,@function
_ZN9rocsparseL10abs_kernelILi256EfEEviiPKT0_lPS1_: ; @_ZN9rocsparseL10abs_kernelILi256EfEEviiPKT0_lPS1_
; %bb.0:
	s_load_dwordx2 s[0:1], s[4:5], 0x0
	v_lshl_or_b32 v0, s6, 8, v0
	s_waitcnt lgkmcnt(0)
	s_mul_i32 s1, s1, s0
	v_cmp_gt_i32_e32 vcc, s1, v0
	s_and_saveexec_b64 s[2:3], vcc
	s_cbranch_execz .LBB1_2
; %bb.1:
	s_abs_i32 s1, s0
	v_cvt_f32_u32_e32 v1, s1
	s_sub_i32 s2, 0, s1
	v_sub_u32_e32 v3, 0, v0
	v_max_i32_e32 v3, v0, v3
	v_rcp_iflag_f32_e32 v1, v1
	v_xor_b32_e32 v4, s0, v0
	v_ashrrev_i32_e32 v4, 31, v4
	v_mul_f32_e32 v1, 0x4f7ffffe, v1
	v_cvt_u32_f32_e32 v1, v1
	v_mul_lo_u32 v2, s2, v1
	s_load_dwordx4 s[8:11], s[4:5], 0x8
	s_load_dwordx2 s[2:3], s[4:5], 0x18
	v_mul_hi_u32 v2, v1, v2
	s_waitcnt lgkmcnt(0)
	v_mov_b32_e32 v6, s9
	v_add_u32_e32 v1, v1, v2
	v_mul_hi_u32 v1, v3, v1
	v_mul_lo_u32 v2, v1, s1
	v_add_u32_e32 v5, 1, v1
	v_sub_u32_e32 v2, v3, v2
	v_cmp_le_u32_e32 vcc, s1, v2
	v_subrev_u32_e32 v3, s1, v2
	v_cndmask_b32_e32 v1, v1, v5, vcc
	v_cndmask_b32_e32 v2, v2, v3, vcc
	v_add_u32_e32 v3, 1, v1
	v_cmp_le_u32_e32 vcc, s1, v2
	v_cndmask_b32_e32 v1, v1, v3, vcc
	v_xor_b32_e32 v1, v1, v4
	v_sub_u32_e32 v1, v1, v4
	v_ashrrev_i32_e32 v4, 31, v1
	v_mul_lo_u32 v3, v1, s0
	v_mul_lo_u32 v5, s11, v1
	v_mad_u64_u32 v[1:2], s[0:1], s10, v1, 0
	v_mul_lo_u32 v4, s10, v4
	v_sub_u32_e32 v3, v0, v3
	v_add3_u32 v2, v2, v4, v5
	v_lshlrev_b64 v[1:2], 2, v[1:2]
	v_ashrrev_i32_e32 v4, 31, v3
	v_lshlrev_b64 v[3:4], 2, v[3:4]
	v_add_co_u32_e32 v1, vcc, s8, v1
	v_addc_co_u32_e32 v2, vcc, v6, v2, vcc
	v_add_co_u32_e32 v1, vcc, v1, v3
	v_addc_co_u32_e32 v2, vcc, v2, v4, vcc
	global_load_dword v2, v[1:2], off
	v_ashrrev_i32_e32 v1, 31, v0
	v_lshlrev_b64 v[0:1], 2, v[0:1]
	v_mov_b32_e32 v3, s3
	s_waitcnt vmcnt(0)
	v_cmp_gt_f32_e32 vcc, 0, v2
	v_cndmask_b32_e64 v2, v2, -v2, vcc
	v_add_co_u32_e32 v0, vcc, s2, v0
	v_addc_co_u32_e32 v1, vcc, v3, v1, vcc
	global_store_dword v[0:1], v2, off
.LBB1_2:
	s_endpgm
	.section	.rodata,"a",@progbits
	.p2align	6, 0x0
	.amdhsa_kernel _ZN9rocsparseL10abs_kernelILi256EfEEviiPKT0_lPS1_
		.amdhsa_group_segment_fixed_size 0
		.amdhsa_private_segment_fixed_size 0
		.amdhsa_kernarg_size 32
		.amdhsa_user_sgpr_count 6
		.amdhsa_user_sgpr_private_segment_buffer 1
		.amdhsa_user_sgpr_dispatch_ptr 0
		.amdhsa_user_sgpr_queue_ptr 0
		.amdhsa_user_sgpr_kernarg_segment_ptr 1
		.amdhsa_user_sgpr_dispatch_id 0
		.amdhsa_user_sgpr_flat_scratch_init 0
		.amdhsa_user_sgpr_private_segment_size 0
		.amdhsa_uses_dynamic_stack 0
		.amdhsa_system_sgpr_private_segment_wavefront_offset 0
		.amdhsa_system_sgpr_workgroup_id_x 1
		.amdhsa_system_sgpr_workgroup_id_y 0
		.amdhsa_system_sgpr_workgroup_id_z 0
		.amdhsa_system_sgpr_workgroup_info 0
		.amdhsa_system_vgpr_workitem_id 0
		.amdhsa_next_free_vgpr 7
		.amdhsa_next_free_sgpr 12
		.amdhsa_reserve_vcc 1
		.amdhsa_reserve_flat_scratch 0
		.amdhsa_float_round_mode_32 0
		.amdhsa_float_round_mode_16_64 0
		.amdhsa_float_denorm_mode_32 3
		.amdhsa_float_denorm_mode_16_64 3
		.amdhsa_dx10_clamp 1
		.amdhsa_ieee_mode 1
		.amdhsa_fp16_overflow 0
		.amdhsa_exception_fp_ieee_invalid_op 0
		.amdhsa_exception_fp_denorm_src 0
		.amdhsa_exception_fp_ieee_div_zero 0
		.amdhsa_exception_fp_ieee_overflow 0
		.amdhsa_exception_fp_ieee_underflow 0
		.amdhsa_exception_fp_ieee_inexact 0
		.amdhsa_exception_int_div_zero 0
	.end_amdhsa_kernel
	.section	.text._ZN9rocsparseL10abs_kernelILi256EfEEviiPKT0_lPS1_,"axG",@progbits,_ZN9rocsparseL10abs_kernelILi256EfEEviiPKT0_lPS1_,comdat
.Lfunc_end1:
	.size	_ZN9rocsparseL10abs_kernelILi256EfEEviiPKT0_lPS1_, .Lfunc_end1-_ZN9rocsparseL10abs_kernelILi256EfEEviiPKT0_lPS1_
                                        ; -- End function
	.set _ZN9rocsparseL10abs_kernelILi256EfEEviiPKT0_lPS1_.num_vgpr, 7
	.set _ZN9rocsparseL10abs_kernelILi256EfEEviiPKT0_lPS1_.num_agpr, 0
	.set _ZN9rocsparseL10abs_kernelILi256EfEEviiPKT0_lPS1_.numbered_sgpr, 12
	.set _ZN9rocsparseL10abs_kernelILi256EfEEviiPKT0_lPS1_.num_named_barrier, 0
	.set _ZN9rocsparseL10abs_kernelILi256EfEEviiPKT0_lPS1_.private_seg_size, 0
	.set _ZN9rocsparseL10abs_kernelILi256EfEEviiPKT0_lPS1_.uses_vcc, 1
	.set _ZN9rocsparseL10abs_kernelILi256EfEEviiPKT0_lPS1_.uses_flat_scratch, 0
	.set _ZN9rocsparseL10abs_kernelILi256EfEEviiPKT0_lPS1_.has_dyn_sized_stack, 0
	.set _ZN9rocsparseL10abs_kernelILi256EfEEviiPKT0_lPS1_.has_recursion, 0
	.set _ZN9rocsparseL10abs_kernelILi256EfEEviiPKT0_lPS1_.has_indirect_call, 0
	.section	.AMDGPU.csdata,"",@progbits
; Kernel info:
; codeLenInByte = 328
; TotalNumSgprs: 16
; NumVgprs: 7
; ScratchSize: 0
; MemoryBound: 0
; FloatMode: 240
; IeeeMode: 1
; LDSByteSize: 0 bytes/workgroup (compile time only)
; SGPRBlocks: 1
; VGPRBlocks: 1
; NumSGPRsForWavesPerEU: 16
; NumVGPRsForWavesPerEU: 7
; Occupancy: 10
; WaveLimiterHint : 0
; COMPUTE_PGM_RSRC2:SCRATCH_EN: 0
; COMPUTE_PGM_RSRC2:USER_SGPR: 6
; COMPUTE_PGM_RSRC2:TRAP_HANDLER: 0
; COMPUTE_PGM_RSRC2:TGID_X_EN: 1
; COMPUTE_PGM_RSRC2:TGID_Y_EN: 0
; COMPUTE_PGM_RSRC2:TGID_Z_EN: 0
; COMPUTE_PGM_RSRC2:TIDIG_COMP_CNT: 0
	.section	.text._ZN9rocsparseL27prune_dense2csr_nnz_kernel2ILi64ELi16EfEEviiPKT1_lS3_Pi,"axG",@progbits,_ZN9rocsparseL27prune_dense2csr_nnz_kernel2ILi64ELi16EfEEviiPKT1_lS3_Pi,comdat
	.globl	_ZN9rocsparseL27prune_dense2csr_nnz_kernel2ILi64ELi16EfEEviiPKT1_lS3_Pi ; -- Begin function _ZN9rocsparseL27prune_dense2csr_nnz_kernel2ILi64ELi16EfEEviiPKT1_lS3_Pi
	.p2align	8
	.type	_ZN9rocsparseL27prune_dense2csr_nnz_kernel2ILi64ELi16EfEEviiPKT1_lS3_Pi,@function
_ZN9rocsparseL27prune_dense2csr_nnz_kernel2ILi64ELi16EfEEviiPKT1_lS3_Pi: ; @_ZN9rocsparseL27prune_dense2csr_nnz_kernel2ILi64ELi16EfEEviiPKT1_lS3_Pi
; %bb.0:
	s_load_dwordx8 s[8:15], s[4:5], 0x0
	s_load_dword s0, s[4:5], 0x34
	s_load_dwordx2 s[16:17], s[4:5], 0x20
	s_lshl_b32 s24, s6, 8
	v_mov_b32_e32 v5, 0
	s_waitcnt lgkmcnt(0)
	s_load_dword s25, s[14:15], 0x0
	s_and_b32 s0, s0, 0xffff
	v_mad_u32_u24 v3, v1, s0, v0
	s_ashr_i32 s0, s9, 31
	s_lshr_b32 s0, s0, 26
	v_and_b32_e32 v4, 63, v3
	s_add_i32 s26, s9, s0
	v_lshrrev_b32_e32 v1, 4, v3
	v_or_b32_e32 v0, s24, v4
	s_andn2_b32 s26, s26, 63
	v_and_b32_e32 v6, 0x7ffffc, v1
	v_cmp_gt_i32_e32 vcc, s26, v6
	v_mov_b32_e32 v7, v5
	v_mov_b32_e32 v8, v5
	;; [unrolled: 1-line block ×3, first 2 shown]
	v_or_b32_e32 v10, 64, v0
	s_and_saveexec_b64 s[14:15], vcc
	s_cbranch_execz .LBB2_12
; %bb.1:
	v_lshrrev_b32_e32 v17, 6, v3
	v_lshlrev_b32_e32 v18, 2, v17
	v_or_b32_e32 v9, 2, v18
	v_mad_u64_u32 v[7:8], s[6:7], s12, v9, 0
	v_or_b32_e32 v11, 3, v18
	v_mad_u64_u32 v[13:14], s[6:7], s12, v11, 0
	v_mad_u64_u32 v[8:9], s[6:7], s13, v9, v[8:9]
	v_mov_b32_e32 v9, v14
	v_mad_u64_u32 v[14:15], s[6:7], s13, v11, v[9:10]
	v_lshlrev_b64 v[7:8], 2, v[7:8]
	v_mov_b32_e32 v12, s11
	v_add_co_u32_e64 v11, s[6:7], s10, v7
	v_addc_co_u32_e64 v12, s[6:7], v12, v8, s[6:7]
	v_mad_u64_u32 v[15:16], s[6:7], s12, v17, 0
	v_lshlrev_b64 v[7:8], 2, v[13:14]
	v_mov_b32_e32 v9, s11
	v_add_co_u32_e64 v13, s[6:7], s10, v7
	v_mov_b32_e32 v7, v16
	v_addc_co_u32_e64 v14, s[6:7], v9, v8, s[6:7]
	v_mad_u64_u32 v[7:8], s[6:7], s13, v17, v[7:8]
	v_mov_b32_e32 v8, s12
	v_mov_b32_e32 v9, s13
	v_mad_u64_u32 v[8:9], s[6:7], s12, v18, v[8:9]
	v_mov_b32_e32 v16, v7
	v_or_b32_e32 v1, 0x80, v0
	v_mov_b32_e32 v7, v9
	v_mad_u64_u32 v[17:18], s[6:7], s13, v18, v[7:8]
	v_lshlrev_b64 v[15:16], 4, v[15:16]
	v_cmp_gt_i32_e64 s[2:3], s8, v1
	v_or_b32_e32 v1, 0xc0, v0
	v_mov_b32_e32 v9, v17
	v_cmp_gt_i32_e64 s[4:5], s8, v1
	v_add_u32_e32 v1, s24, v4
	v_mov_b32_e32 v19, s11
	v_add_co_u32_e64 v15, s[6:7], s10, v15
	v_lshlrev_b64 v[7:8], 2, v[8:9]
	v_ashrrev_i32_e32 v2, 31, v1
	v_addc_co_u32_e64 v16, s[6:7], v19, v16, s[6:7]
	v_lshlrev_b64 v[1:2], 2, v[1:2]
	v_mov_b32_e32 v9, s11
	v_add_co_u32_e64 v17, s[6:7], s10, v7
	v_cmp_gt_i32_e32 vcc, s8, v0
	v_cmp_gt_i32_e64 s[0:1], s8, v10
	s_lshl_b64 s[18:19], s[12:13], 8
	v_addc_co_u32_e64 v18, s[6:7], v9, v8, s[6:7]
	v_mov_b32_e32 v7, v5
	v_mov_b32_e32 v8, v5
	;; [unrolled: 1-line block ×3, first 2 shown]
	s_mov_b64 s[20:21], 0
	s_branch .LBB2_3
.LBB2_2:                                ;   in Loop: Header=BB2_3 Depth=1
	s_or_b64 exec, exec, s[22:23]
	v_mov_b32_e32 v19, s19
	v_add_co_u32_e64 v11, s[6:7], s18, v11
	v_addc_co_u32_e64 v12, s[6:7], v12, v19, s[6:7]
	v_add_co_u32_e64 v13, s[6:7], s18, v13
	v_addc_co_u32_e64 v14, s[6:7], v14, v19, s[6:7]
	v_add_co_u32_e64 v15, s[6:7], s18, v15
	v_add_u32_e32 v6, 64, v6
	v_addc_co_u32_e64 v16, s[6:7], v16, v19, s[6:7]
	v_cmp_le_i32_e64 s[6:7], s26, v6
	s_or_b64 s[20:21], s[6:7], s[20:21]
	v_add_co_u32_e64 v17, s[6:7], s18, v17
	v_addc_co_u32_e64 v18, s[6:7], v18, v19, s[6:7]
	s_andn2_b64 exec, exec, s[20:21]
	s_cbranch_execz .LBB2_11
.LBB2_3:                                ; =>This Inner Loop Header: Depth=1
	s_and_saveexec_b64 s[22:23], vcc
	s_cbranch_execnz .LBB2_7
; %bb.4:                                ;   in Loop: Header=BB2_3 Depth=1
	s_or_b64 exec, exec, s[22:23]
	s_and_saveexec_b64 s[22:23], s[0:1]
	s_cbranch_execnz .LBB2_8
.LBB2_5:                                ;   in Loop: Header=BB2_3 Depth=1
	s_or_b64 exec, exec, s[22:23]
	s_and_saveexec_b64 s[22:23], s[2:3]
	s_cbranch_execnz .LBB2_9
.LBB2_6:                                ;   in Loop: Header=BB2_3 Depth=1
	s_or_b64 exec, exec, s[22:23]
	s_and_saveexec_b64 s[22:23], s[4:5]
	s_cbranch_execz .LBB2_2
	s_branch .LBB2_10
.LBB2_7:                                ;   in Loop: Header=BB2_3 Depth=1
	v_add_co_u32_e64 v19, s[6:7], v15, v1
	v_addc_co_u32_e64 v20, s[6:7], v16, v2, s[6:7]
	global_load_dword v21, v[19:20], off
	v_add_co_u32_e64 v19, s[6:7], v17, v1
	v_addc_co_u32_e64 v20, s[6:7], v18, v2, s[6:7]
	global_load_dword v22, v[19:20], off
	;; [unrolled: 3-line block ×4, first 2 shown]
	s_waitcnt vmcnt(3) lgkmcnt(0)
	v_cmp_gt_f32_e64 s[6:7], |v21|, s25
	v_cndmask_b32_e64 v20, 0, 1, s[6:7]
	s_waitcnt vmcnt(1)
	v_cmp_gt_f32_e64 s[6:7], |v23|, s25
	v_cndmask_b32_e64 v21, 0, 1, s[6:7]
	v_cmp_gt_f32_e64 s[6:7], |v22|, s25
	v_addc_co_u32_e64 v5, s[6:7], v5, v20, s[6:7]
	s_waitcnt vmcnt(0)
	v_cmp_gt_f32_e64 s[6:7], |v19|, s25
	v_addc_co_u32_e64 v5, s[6:7], v5, v21, s[6:7]
	s_or_b64 exec, exec, s[22:23]
	s_and_saveexec_b64 s[22:23], s[0:1]
	s_cbranch_execz .LBB2_5
.LBB2_8:                                ;   in Loop: Header=BB2_3 Depth=1
	v_add_co_u32_e64 v19, s[6:7], v15, v1
	v_addc_co_u32_e64 v20, s[6:7], v16, v2, s[6:7]
	global_load_dword v21, v[19:20], off offset:256
	v_add_co_u32_e64 v19, s[6:7], v17, v1
	v_addc_co_u32_e64 v20, s[6:7], v18, v2, s[6:7]
	global_load_dword v22, v[19:20], off offset:256
	;; [unrolled: 3-line block ×4, first 2 shown]
	s_waitcnt vmcnt(3) lgkmcnt(0)
	v_cmp_gt_f32_e64 s[6:7], |v21|, s25
	v_cndmask_b32_e64 v20, 0, 1, s[6:7]
	s_waitcnt vmcnt(1)
	v_cmp_gt_f32_e64 s[6:7], |v23|, s25
	v_cndmask_b32_e64 v21, 0, 1, s[6:7]
	v_cmp_gt_f32_e64 s[6:7], |v22|, s25
	v_addc_co_u32_e64 v7, s[6:7], v7, v20, s[6:7]
	s_waitcnt vmcnt(0)
	v_cmp_gt_f32_e64 s[6:7], |v19|, s25
	v_addc_co_u32_e64 v7, s[6:7], v7, v21, s[6:7]
	s_or_b64 exec, exec, s[22:23]
	s_and_saveexec_b64 s[22:23], s[2:3]
	s_cbranch_execz .LBB2_6
.LBB2_9:                                ;   in Loop: Header=BB2_3 Depth=1
	v_add_co_u32_e64 v19, s[6:7], v15, v1
	v_addc_co_u32_e64 v20, s[6:7], v16, v2, s[6:7]
	global_load_dword v21, v[19:20], off offset:512
	v_add_co_u32_e64 v19, s[6:7], v17, v1
	v_addc_co_u32_e64 v20, s[6:7], v18, v2, s[6:7]
	global_load_dword v22, v[19:20], off offset:512
	;; [unrolled: 3-line block ×4, first 2 shown]
	s_waitcnt vmcnt(3) lgkmcnt(0)
	v_cmp_gt_f32_e64 s[6:7], |v21|, s25
	v_cndmask_b32_e64 v20, 0, 1, s[6:7]
	s_waitcnt vmcnt(1)
	v_cmp_gt_f32_e64 s[6:7], |v23|, s25
	v_cndmask_b32_e64 v21, 0, 1, s[6:7]
	v_cmp_gt_f32_e64 s[6:7], |v22|, s25
	v_addc_co_u32_e64 v8, s[6:7], v8, v20, s[6:7]
	s_waitcnt vmcnt(0)
	v_cmp_gt_f32_e64 s[6:7], |v19|, s25
	v_addc_co_u32_e64 v8, s[6:7], v8, v21, s[6:7]
	s_or_b64 exec, exec, s[22:23]
	s_and_saveexec_b64 s[22:23], s[4:5]
	s_cbranch_execz .LBB2_2
.LBB2_10:                               ;   in Loop: Header=BB2_3 Depth=1
	v_add_co_u32_e64 v19, s[6:7], v15, v1
	v_addc_co_u32_e64 v20, s[6:7], v16, v2, s[6:7]
	global_load_dword v21, v[19:20], off offset:768
	v_add_co_u32_e64 v19, s[6:7], v17, v1
	v_addc_co_u32_e64 v20, s[6:7], v18, v2, s[6:7]
	global_load_dword v22, v[19:20], off offset:768
	;; [unrolled: 3-line block ×4, first 2 shown]
	s_waitcnt vmcnt(3) lgkmcnt(0)
	v_cmp_gt_f32_e64 s[6:7], |v21|, s25
	v_cndmask_b32_e64 v20, 0, 1, s[6:7]
	s_waitcnt vmcnt(1)
	v_cmp_gt_f32_e64 s[6:7], |v23|, s25
	v_cndmask_b32_e64 v21, 0, 1, s[6:7]
	v_cmp_gt_f32_e64 s[6:7], |v22|, s25
	v_addc_co_u32_e64 v9, s[6:7], v9, v20, s[6:7]
	s_waitcnt vmcnt(0)
	v_cmp_gt_f32_e64 s[6:7], |v19|, s25
	v_addc_co_u32_e64 v9, s[6:7], v9, v21, s[6:7]
	s_branch .LBB2_2
.LBB2_11:
	s_or_b64 exec, exec, s[20:21]
.LBB2_12:
	s_or_b64 exec, exec, s[14:15]
	s_sub_i32 s0, s9, s26
	s_cmp_lt_i32 s0, 1
	s_cbranch_scc1 .LBB2_54
; %bb.13:
	v_cmp_gt_i32_e32 vcc, s8, v0
	v_ashrrev_i32_e32 v1, 31, v0
	s_and_saveexec_b64 s[0:1], vcc
	s_cbranch_execz .LBB2_23
; %bb.14:
	v_lshlrev_b64 v[11:12], 2, v[0:1]
	v_mov_b32_e32 v13, s11
	v_add_co_u32_e32 v2, vcc, s10, v11
	v_addc_co_u32_e32 v11, vcc, v13, v12, vcc
	v_cmp_gt_i32_e32 vcc, s9, v6
	s_and_saveexec_b64 s[2:3], vcc
	s_cbranch_execz .LBB2_16
; %bb.15:
	v_mad_u64_u32 v[12:13], s[4:5], s12, v6, 0
	v_mad_u64_u32 v[13:14], s[4:5], s13, v6, v[13:14]
	v_lshlrev_b64 v[12:13], 2, v[12:13]
	v_add_co_u32_e32 v12, vcc, v2, v12
	v_addc_co_u32_e32 v13, vcc, v11, v13, vcc
	global_load_dword v12, v[12:13], off
	s_waitcnt vmcnt(0) lgkmcnt(0)
	v_cmp_gt_f32_e64 vcc, |v12|, s25
	v_addc_co_u32_e32 v5, vcc, 0, v5, vcc
.LBB2_16:
	s_or_b64 exec, exec, s[2:3]
	v_or_b32_e32 v12, 1, v6
	v_cmp_gt_i32_e32 vcc, s9, v12
	s_and_saveexec_b64 s[2:3], vcc
	s_cbranch_execz .LBB2_18
; %bb.17:
	v_mad_u64_u32 v[13:14], s[4:5], s12, v12, 0
	v_mad_u64_u32 v[14:15], s[4:5], s13, v12, v[14:15]
	v_lshlrev_b64 v[12:13], 2, v[13:14]
	v_add_co_u32_e32 v12, vcc, v2, v12
	v_addc_co_u32_e32 v13, vcc, v11, v13, vcc
	global_load_dword v12, v[12:13], off
	s_waitcnt vmcnt(0) lgkmcnt(0)
	v_cmp_gt_f32_e64 vcc, |v12|, s25
	v_addc_co_u32_e32 v5, vcc, 0, v5, vcc
.LBB2_18:
	s_or_b64 exec, exec, s[2:3]
	v_or_b32_e32 v12, 2, v6
	;; [unrolled: 16-line block ×3, first 2 shown]
	v_cmp_gt_i32_e32 vcc, s9, v12
	s_and_saveexec_b64 s[2:3], vcc
	s_cbranch_execz .LBB2_22
; %bb.21:
	v_mad_u64_u32 v[13:14], s[4:5], s12, v12, 0
	v_mad_u64_u32 v[14:15], s[4:5], s13, v12, v[14:15]
	v_lshlrev_b64 v[12:13], 2, v[13:14]
	v_add_co_u32_e32 v12, vcc, v2, v12
	v_addc_co_u32_e32 v13, vcc, v11, v13, vcc
	global_load_dword v2, v[12:13], off
	s_waitcnt vmcnt(0) lgkmcnt(0)
	v_cmp_gt_f32_e64 vcc, |v2|, s25
	v_addc_co_u32_e32 v5, vcc, 0, v5, vcc
.LBB2_22:
	s_or_b64 exec, exec, s[2:3]
.LBB2_23:
	s_or_b64 exec, exec, s[0:1]
	v_cmp_gt_i32_e32 vcc, s8, v10
	s_and_saveexec_b64 s[0:1], vcc
	s_cbranch_execz .LBB2_33
; %bb.24:
	v_lshlrev_b64 v[10:11], 2, v[0:1]
	v_mov_b32_e32 v12, s11
	v_add_co_u32_e32 v2, vcc, s10, v10
	v_addc_co_u32_e32 v10, vcc, v12, v11, vcc
	v_cmp_gt_i32_e32 vcc, s9, v6
	s_and_saveexec_b64 s[2:3], vcc
	s_cbranch_execz .LBB2_26
; %bb.25:
	v_mad_u64_u32 v[11:12], s[4:5], s12, v6, 0
	v_mad_u64_u32 v[12:13], s[4:5], s13, v6, v[12:13]
	v_lshlrev_b64 v[11:12], 2, v[11:12]
	v_add_co_u32_e32 v11, vcc, v2, v11
	v_addc_co_u32_e32 v12, vcc, v10, v12, vcc
	global_load_dword v11, v[11:12], off offset:256
	s_waitcnt vmcnt(0) lgkmcnt(0)
	v_cmp_gt_f32_e64 vcc, |v11|, s25
	v_addc_co_u32_e32 v7, vcc, 0, v7, vcc
.LBB2_26:
	s_or_b64 exec, exec, s[2:3]
	v_or_b32_e32 v11, 1, v6
	v_cmp_gt_i32_e32 vcc, s9, v11
	s_and_saveexec_b64 s[2:3], vcc
	s_cbranch_execz .LBB2_28
; %bb.27:
	v_mad_u64_u32 v[12:13], s[4:5], s12, v11, 0
	v_mad_u64_u32 v[13:14], s[4:5], s13, v11, v[13:14]
	v_lshlrev_b64 v[11:12], 2, v[12:13]
	v_add_co_u32_e32 v11, vcc, v2, v11
	v_addc_co_u32_e32 v12, vcc, v10, v12, vcc
	global_load_dword v11, v[11:12], off offset:256
	s_waitcnt vmcnt(0) lgkmcnt(0)
	v_cmp_gt_f32_e64 vcc, |v11|, s25
	v_addc_co_u32_e32 v7, vcc, 0, v7, vcc
.LBB2_28:
	s_or_b64 exec, exec, s[2:3]
	v_or_b32_e32 v11, 2, v6
	;; [unrolled: 16-line block ×3, first 2 shown]
	v_cmp_gt_i32_e32 vcc, s9, v11
	s_and_saveexec_b64 s[2:3], vcc
	s_cbranch_execz .LBB2_32
; %bb.31:
	v_mad_u64_u32 v[12:13], s[4:5], s12, v11, 0
	v_mad_u64_u32 v[13:14], s[4:5], s13, v11, v[13:14]
	v_lshlrev_b64 v[11:12], 2, v[12:13]
	v_add_co_u32_e32 v11, vcc, v2, v11
	v_addc_co_u32_e32 v12, vcc, v10, v12, vcc
	global_load_dword v2, v[11:12], off offset:256
	s_waitcnt vmcnt(0) lgkmcnt(0)
	v_cmp_gt_f32_e64 vcc, |v2|, s25
	v_addc_co_u32_e32 v7, vcc, 0, v7, vcc
.LBB2_32:
	s_or_b64 exec, exec, s[2:3]
.LBB2_33:
	s_or_b64 exec, exec, s[0:1]
	v_or_b32_e32 v2, 0x80, v0
	v_cmp_gt_i32_e32 vcc, s8, v2
	s_and_saveexec_b64 s[0:1], vcc
	s_cbranch_execz .LBB2_43
; %bb.34:
	v_lshlrev_b64 v[10:11], 2, v[0:1]
	v_mov_b32_e32 v12, s11
	v_add_co_u32_e32 v2, vcc, s10, v10
	v_addc_co_u32_e32 v10, vcc, v12, v11, vcc
	v_cmp_gt_i32_e32 vcc, s9, v6
	s_and_saveexec_b64 s[2:3], vcc
	s_cbranch_execz .LBB2_36
; %bb.35:
	v_mad_u64_u32 v[11:12], s[4:5], s12, v6, 0
	v_mad_u64_u32 v[12:13], s[4:5], s13, v6, v[12:13]
	v_lshlrev_b64 v[11:12], 2, v[11:12]
	v_add_co_u32_e32 v11, vcc, v2, v11
	v_addc_co_u32_e32 v12, vcc, v10, v12, vcc
	global_load_dword v11, v[11:12], off offset:512
	s_waitcnt vmcnt(0) lgkmcnt(0)
	v_cmp_gt_f32_e64 vcc, |v11|, s25
	v_addc_co_u32_e32 v8, vcc, 0, v8, vcc
.LBB2_36:
	s_or_b64 exec, exec, s[2:3]
	v_or_b32_e32 v11, 1, v6
	v_cmp_gt_i32_e32 vcc, s9, v11
	s_and_saveexec_b64 s[2:3], vcc
	s_cbranch_execz .LBB2_38
; %bb.37:
	v_mad_u64_u32 v[12:13], s[4:5], s12, v11, 0
	v_mad_u64_u32 v[13:14], s[4:5], s13, v11, v[13:14]
	v_lshlrev_b64 v[11:12], 2, v[12:13]
	v_add_co_u32_e32 v11, vcc, v2, v11
	v_addc_co_u32_e32 v12, vcc, v10, v12, vcc
	global_load_dword v11, v[11:12], off offset:512
	s_waitcnt vmcnt(0) lgkmcnt(0)
	v_cmp_gt_f32_e64 vcc, |v11|, s25
	v_addc_co_u32_e32 v8, vcc, 0, v8, vcc
.LBB2_38:
	s_or_b64 exec, exec, s[2:3]
	v_or_b32_e32 v11, 2, v6
	;; [unrolled: 16-line block ×3, first 2 shown]
	v_cmp_gt_i32_e32 vcc, s9, v11
	s_and_saveexec_b64 s[2:3], vcc
	s_cbranch_execz .LBB2_42
; %bb.41:
	v_mad_u64_u32 v[12:13], s[4:5], s12, v11, 0
	v_mad_u64_u32 v[13:14], s[4:5], s13, v11, v[13:14]
	v_lshlrev_b64 v[11:12], 2, v[12:13]
	v_add_co_u32_e32 v11, vcc, v2, v11
	v_addc_co_u32_e32 v12, vcc, v10, v12, vcc
	global_load_dword v2, v[11:12], off offset:512
	s_waitcnt vmcnt(0) lgkmcnt(0)
	v_cmp_gt_f32_e64 vcc, |v2|, s25
	v_addc_co_u32_e32 v8, vcc, 0, v8, vcc
.LBB2_42:
	s_or_b64 exec, exec, s[2:3]
.LBB2_43:
	s_or_b64 exec, exec, s[0:1]
	v_or_b32_e32 v2, 0xc0, v0
	v_cmp_gt_i32_e32 vcc, s8, v2
	s_and_saveexec_b64 s[0:1], vcc
	s_cbranch_execz .LBB2_53
; %bb.44:
	v_lshlrev_b64 v[0:1], 2, v[0:1]
	v_mov_b32_e32 v2, s11
	v_add_co_u32_e32 v0, vcc, s10, v0
	v_addc_co_u32_e32 v1, vcc, v2, v1, vcc
	v_cmp_gt_i32_e32 vcc, s9, v6
	s_and_saveexec_b64 s[2:3], vcc
	s_cbranch_execz .LBB2_46
; %bb.45:
	v_mad_u64_u32 v[10:11], s[4:5], s12, v6, 0
	v_mov_b32_e32 v2, v11
	v_mad_u64_u32 v[11:12], s[4:5], s13, v6, v[2:3]
	v_lshlrev_b64 v[10:11], 2, v[10:11]
	v_add_co_u32_e32 v10, vcc, v0, v10
	v_addc_co_u32_e32 v11, vcc, v1, v11, vcc
	global_load_dword v2, v[10:11], off offset:768
	s_waitcnt vmcnt(0) lgkmcnt(0)
	v_cmp_gt_f32_e64 vcc, |v2|, s25
	v_addc_co_u32_e32 v9, vcc, 0, v9, vcc
.LBB2_46:
	s_or_b64 exec, exec, s[2:3]
	v_or_b32_e32 v2, 1, v6
	v_cmp_gt_i32_e32 vcc, s9, v2
	s_and_saveexec_b64 s[2:3], vcc
	s_cbranch_execz .LBB2_48
; %bb.47:
	v_mad_u64_u32 v[10:11], s[4:5], s12, v2, 0
	v_mad_u64_u32 v[11:12], s[4:5], s13, v2, v[11:12]
	v_lshlrev_b64 v[10:11], 2, v[10:11]
	v_add_co_u32_e32 v10, vcc, v0, v10
	v_addc_co_u32_e32 v11, vcc, v1, v11, vcc
	global_load_dword v2, v[10:11], off offset:768
	s_waitcnt vmcnt(0) lgkmcnt(0)
	v_cmp_gt_f32_e64 vcc, |v2|, s25
	v_addc_co_u32_e32 v9, vcc, 0, v9, vcc
.LBB2_48:
	s_or_b64 exec, exec, s[2:3]
	v_or_b32_e32 v2, 2, v6
	v_cmp_gt_i32_e32 vcc, s9, v2
	s_and_saveexec_b64 s[2:3], vcc
	s_cbranch_execz .LBB2_50
; %bb.49:
	v_mad_u64_u32 v[10:11], s[4:5], s12, v2, 0
	v_mad_u64_u32 v[11:12], s[4:5], s13, v2, v[11:12]
	v_lshlrev_b64 v[10:11], 2, v[10:11]
	v_add_co_u32_e32 v10, vcc, v0, v10
	v_addc_co_u32_e32 v11, vcc, v1, v11, vcc
	global_load_dword v2, v[10:11], off offset:768
	s_waitcnt vmcnt(0) lgkmcnt(0)
	v_cmp_gt_f32_e64 vcc, |v2|, s25
	v_addc_co_u32_e32 v9, vcc, 0, v9, vcc
.LBB2_50:
	s_or_b64 exec, exec, s[2:3]
	v_or_b32_e32 v2, 3, v6
	v_cmp_gt_i32_e32 vcc, s9, v2
	s_and_saveexec_b64 s[2:3], vcc
	s_cbranch_execz .LBB2_52
; %bb.51:
	v_mad_u64_u32 v[10:11], s[4:5], s12, v2, 0
	v_mov_b32_e32 v6, v11
	v_mad_u64_u32 v[11:12], s[4:5], s13, v2, v[6:7]
	v_lshlrev_b64 v[10:11], 2, v[10:11]
	v_add_co_u32_e32 v0, vcc, v0, v10
	v_addc_co_u32_e32 v1, vcc, v1, v11, vcc
	global_load_dword v0, v[0:1], off offset:768
	s_waitcnt vmcnt(0) lgkmcnt(0)
	v_cmp_gt_f32_e64 vcc, |v0|, s25
	v_addc_co_u32_e32 v9, vcc, 0, v9, vcc
.LBB2_52:
	s_or_b64 exec, exec, s[2:3]
.LBB2_53:
	s_or_b64 exec, exec, s[0:1]
.LBB2_54:
	v_lshlrev_b32_e32 v0, 4, v3
	v_lshlrev_b32_e32 v1, 2, v4
	s_mov_b32 s0, 0x7ffffc00
	v_and_or_b32 v0, v0, s0, v1
	s_movk_i32 s0, 0x100
	v_cmp_gt_u32_e32 vcc, s0, v3
	ds_write2st64_b32 v0, v5, v7 offset1:1
	ds_write2st64_b32 v0, v8, v9 offset0:2 offset1:3
	s_waitcnt lgkmcnt(0)
	s_barrier
	s_and_saveexec_b64 s[0:1], vcc
	s_cbranch_execz .LBB2_57
; %bb.55:
	v_lshlrev_b32_e32 v12, 2, v3
	ds_read2st64_b32 v[1:2], v12 offset1:4
	ds_read2st64_b32 v[4:5], v12 offset0:8 offset1:12
	ds_read2st64_b32 v[6:7], v12 offset0:16 offset1:20
	;; [unrolled: 1-line block ×3, first 2 shown]
	v_or_b32_e32 v0, s24, v3
	s_waitcnt lgkmcnt(3)
	v_add_u32_e32 v1, v2, v1
	s_waitcnt lgkmcnt(2)
	v_add3_u32 v1, v1, v4, v5
	s_waitcnt lgkmcnt(1)
	v_add3_u32 v7, v1, v6, v7
	ds_read2st64_b32 v[1:2], v12 offset0:32 offset1:36
	ds_read2st64_b32 v[3:4], v12 offset0:40 offset1:44
	;; [unrolled: 1-line block ×4, first 2 shown]
	s_waitcnt lgkmcnt(4)
	v_add3_u32 v7, v7, v8, v9
	s_waitcnt lgkmcnt(3)
	v_add3_u32 v1, v7, v1, v2
	;; [unrolled: 2-line block ×5, first 2 shown]
	v_cmp_gt_i32_e32 vcc, s8, v0
	ds_write_b32 v12, v2
	s_and_b64 exec, exec, vcc
	s_cbranch_execz .LBB2_57
; %bb.56:
	v_ashrrev_i32_e32 v1, 31, v0
	v_lshlrev_b64 v[0:1], 2, v[0:1]
	v_mov_b32_e32 v3, s17
	v_add_co_u32_e32 v0, vcc, s16, v0
	v_addc_co_u32_e32 v1, vcc, v3, v1, vcc
	global_store_dword v[0:1], v2, off
.LBB2_57:
	s_endpgm
	.section	.rodata,"a",@progbits
	.p2align	6, 0x0
	.amdhsa_kernel _ZN9rocsparseL27prune_dense2csr_nnz_kernel2ILi64ELi16EfEEviiPKT1_lS3_Pi
		.amdhsa_group_segment_fixed_size 16384
		.amdhsa_private_segment_fixed_size 0
		.amdhsa_kernarg_size 296
		.amdhsa_user_sgpr_count 6
		.amdhsa_user_sgpr_private_segment_buffer 1
		.amdhsa_user_sgpr_dispatch_ptr 0
		.amdhsa_user_sgpr_queue_ptr 0
		.amdhsa_user_sgpr_kernarg_segment_ptr 1
		.amdhsa_user_sgpr_dispatch_id 0
		.amdhsa_user_sgpr_flat_scratch_init 0
		.amdhsa_user_sgpr_private_segment_size 0
		.amdhsa_uses_dynamic_stack 0
		.amdhsa_system_sgpr_private_segment_wavefront_offset 0
		.amdhsa_system_sgpr_workgroup_id_x 1
		.amdhsa_system_sgpr_workgroup_id_y 0
		.amdhsa_system_sgpr_workgroup_id_z 0
		.amdhsa_system_sgpr_workgroup_info 0
		.amdhsa_system_vgpr_workitem_id 1
		.amdhsa_next_free_vgpr 29
		.amdhsa_next_free_sgpr 61
		.amdhsa_reserve_vcc 1
		.amdhsa_reserve_flat_scratch 0
		.amdhsa_float_round_mode_32 0
		.amdhsa_float_round_mode_16_64 0
		.amdhsa_float_denorm_mode_32 3
		.amdhsa_float_denorm_mode_16_64 3
		.amdhsa_dx10_clamp 1
		.amdhsa_ieee_mode 1
		.amdhsa_fp16_overflow 0
		.amdhsa_exception_fp_ieee_invalid_op 0
		.amdhsa_exception_fp_denorm_src 0
		.amdhsa_exception_fp_ieee_div_zero 0
		.amdhsa_exception_fp_ieee_overflow 0
		.amdhsa_exception_fp_ieee_underflow 0
		.amdhsa_exception_fp_ieee_inexact 0
		.amdhsa_exception_int_div_zero 0
	.end_amdhsa_kernel
	.section	.text._ZN9rocsparseL27prune_dense2csr_nnz_kernel2ILi64ELi16EfEEviiPKT1_lS3_Pi,"axG",@progbits,_ZN9rocsparseL27prune_dense2csr_nnz_kernel2ILi64ELi16EfEEviiPKT1_lS3_Pi,comdat
.Lfunc_end2:
	.size	_ZN9rocsparseL27prune_dense2csr_nnz_kernel2ILi64ELi16EfEEviiPKT1_lS3_Pi, .Lfunc_end2-_ZN9rocsparseL27prune_dense2csr_nnz_kernel2ILi64ELi16EfEEviiPKT1_lS3_Pi
                                        ; -- End function
	.set _ZN9rocsparseL27prune_dense2csr_nnz_kernel2ILi64ELi16EfEEviiPKT1_lS3_Pi.num_vgpr, 24
	.set _ZN9rocsparseL27prune_dense2csr_nnz_kernel2ILi64ELi16EfEEviiPKT1_lS3_Pi.num_agpr, 0
	.set _ZN9rocsparseL27prune_dense2csr_nnz_kernel2ILi64ELi16EfEEviiPKT1_lS3_Pi.numbered_sgpr, 27
	.set _ZN9rocsparseL27prune_dense2csr_nnz_kernel2ILi64ELi16EfEEviiPKT1_lS3_Pi.num_named_barrier, 0
	.set _ZN9rocsparseL27prune_dense2csr_nnz_kernel2ILi64ELi16EfEEviiPKT1_lS3_Pi.private_seg_size, 0
	.set _ZN9rocsparseL27prune_dense2csr_nnz_kernel2ILi64ELi16EfEEviiPKT1_lS3_Pi.uses_vcc, 1
	.set _ZN9rocsparseL27prune_dense2csr_nnz_kernel2ILi64ELi16EfEEviiPKT1_lS3_Pi.uses_flat_scratch, 0
	.set _ZN9rocsparseL27prune_dense2csr_nnz_kernel2ILi64ELi16EfEEviiPKT1_lS3_Pi.has_dyn_sized_stack, 0
	.set _ZN9rocsparseL27prune_dense2csr_nnz_kernel2ILi64ELi16EfEEviiPKT1_lS3_Pi.has_recursion, 0
	.set _ZN9rocsparseL27prune_dense2csr_nnz_kernel2ILi64ELi16EfEEviiPKT1_lS3_Pi.has_indirect_call, 0
	.section	.AMDGPU.csdata,"",@progbits
; Kernel info:
; codeLenInByte = 2976
; TotalNumSgprs: 31
; NumVgprs: 24
; ScratchSize: 0
; MemoryBound: 0
; FloatMode: 240
; IeeeMode: 1
; LDSByteSize: 16384 bytes/workgroup (compile time only)
; SGPRBlocks: 8
; VGPRBlocks: 7
; NumSGPRsForWavesPerEU: 65
; NumVGPRsForWavesPerEU: 29
; Occupancy: 8
; WaveLimiterHint : 0
; COMPUTE_PGM_RSRC2:SCRATCH_EN: 0
; COMPUTE_PGM_RSRC2:USER_SGPR: 6
; COMPUTE_PGM_RSRC2:TRAP_HANDLER: 0
; COMPUTE_PGM_RSRC2:TGID_X_EN: 1
; COMPUTE_PGM_RSRC2:TGID_Y_EN: 0
; COMPUTE_PGM_RSRC2:TGID_Z_EN: 0
; COMPUTE_PGM_RSRC2:TIDIG_COMP_CNT: 1
	.section	.text._ZN9rocsparseL10abs_kernelILi256EdEEviiPKT0_lPS1_,"axG",@progbits,_ZN9rocsparseL10abs_kernelILi256EdEEviiPKT0_lPS1_,comdat
	.globl	_ZN9rocsparseL10abs_kernelILi256EdEEviiPKT0_lPS1_ ; -- Begin function _ZN9rocsparseL10abs_kernelILi256EdEEviiPKT0_lPS1_
	.p2align	8
	.type	_ZN9rocsparseL10abs_kernelILi256EdEEviiPKT0_lPS1_,@function
_ZN9rocsparseL10abs_kernelILi256EdEEviiPKT0_lPS1_: ; @_ZN9rocsparseL10abs_kernelILi256EdEEviiPKT0_lPS1_
; %bb.0:
	s_load_dwordx2 s[0:1], s[4:5], 0x0
	v_lshl_or_b32 v0, s6, 8, v0
	s_waitcnt lgkmcnt(0)
	s_mul_i32 s1, s1, s0
	v_cmp_gt_i32_e32 vcc, s1, v0
	s_and_saveexec_b64 s[2:3], vcc
	s_cbranch_execz .LBB3_2
; %bb.1:
	s_abs_i32 s1, s0
	v_cvt_f32_u32_e32 v1, s1
	s_sub_i32 s2, 0, s1
	v_sub_u32_e32 v3, 0, v0
	v_max_i32_e32 v3, v0, v3
	v_rcp_iflag_f32_e32 v1, v1
	v_xor_b32_e32 v4, s0, v0
	v_ashrrev_i32_e32 v4, 31, v4
	v_mul_f32_e32 v1, 0x4f7ffffe, v1
	v_cvt_u32_f32_e32 v1, v1
	v_mul_lo_u32 v2, s2, v1
	s_load_dwordx4 s[8:11], s[4:5], 0x8
	s_load_dwordx2 s[2:3], s[4:5], 0x18
	v_mul_hi_u32 v2, v1, v2
	s_waitcnt lgkmcnt(0)
	v_mov_b32_e32 v6, s9
	v_add_u32_e32 v1, v1, v2
	v_mul_hi_u32 v1, v3, v1
	v_mul_lo_u32 v2, v1, s1
	v_add_u32_e32 v5, 1, v1
	v_sub_u32_e32 v2, v3, v2
	v_cmp_le_u32_e32 vcc, s1, v2
	v_subrev_u32_e32 v3, s1, v2
	v_cndmask_b32_e32 v1, v1, v5, vcc
	v_cndmask_b32_e32 v2, v2, v3, vcc
	v_add_u32_e32 v3, 1, v1
	v_cmp_le_u32_e32 vcc, s1, v2
	v_cndmask_b32_e32 v1, v1, v3, vcc
	v_xor_b32_e32 v1, v1, v4
	v_sub_u32_e32 v1, v1, v4
	v_ashrrev_i32_e32 v4, 31, v1
	v_mul_lo_u32 v3, v1, s0
	v_mul_lo_u32 v5, s11, v1
	v_mad_u64_u32 v[1:2], s[0:1], s10, v1, 0
	v_mul_lo_u32 v4, s10, v4
	v_sub_u32_e32 v3, v0, v3
	v_add3_u32 v2, v2, v4, v5
	v_lshlrev_b64 v[1:2], 3, v[1:2]
	v_ashrrev_i32_e32 v4, 31, v3
	v_lshlrev_b64 v[3:4], 3, v[3:4]
	v_add_co_u32_e32 v1, vcc, s8, v1
	v_addc_co_u32_e32 v2, vcc, v6, v2, vcc
	v_add_co_u32_e32 v1, vcc, v1, v3
	v_addc_co_u32_e32 v2, vcc, v2, v4, vcc
	global_load_dwordx2 v[2:3], v[1:2], off
	v_ashrrev_i32_e32 v1, 31, v0
	v_lshlrev_b64 v[0:1], 3, v[0:1]
	v_mov_b32_e32 v4, s3
	s_waitcnt vmcnt(0)
	v_cmp_gt_f64_e32 vcc, 0, v[2:3]
	v_xor_b32_e32 v5, 0x80000000, v3
	v_cndmask_b32_e32 v3, v3, v5, vcc
	v_add_co_u32_e32 v0, vcc, s2, v0
	v_addc_co_u32_e32 v1, vcc, v4, v1, vcc
	global_store_dwordx2 v[0:1], v[2:3], off
.LBB3_2:
	s_endpgm
	.section	.rodata,"a",@progbits
	.p2align	6, 0x0
	.amdhsa_kernel _ZN9rocsparseL10abs_kernelILi256EdEEviiPKT0_lPS1_
		.amdhsa_group_segment_fixed_size 0
		.amdhsa_private_segment_fixed_size 0
		.amdhsa_kernarg_size 32
		.amdhsa_user_sgpr_count 6
		.amdhsa_user_sgpr_private_segment_buffer 1
		.amdhsa_user_sgpr_dispatch_ptr 0
		.amdhsa_user_sgpr_queue_ptr 0
		.amdhsa_user_sgpr_kernarg_segment_ptr 1
		.amdhsa_user_sgpr_dispatch_id 0
		.amdhsa_user_sgpr_flat_scratch_init 0
		.amdhsa_user_sgpr_private_segment_size 0
		.amdhsa_uses_dynamic_stack 0
		.amdhsa_system_sgpr_private_segment_wavefront_offset 0
		.amdhsa_system_sgpr_workgroup_id_x 1
		.amdhsa_system_sgpr_workgroup_id_y 0
		.amdhsa_system_sgpr_workgroup_id_z 0
		.amdhsa_system_sgpr_workgroup_info 0
		.amdhsa_system_vgpr_workitem_id 0
		.amdhsa_next_free_vgpr 7
		.amdhsa_next_free_sgpr 12
		.amdhsa_reserve_vcc 1
		.amdhsa_reserve_flat_scratch 0
		.amdhsa_float_round_mode_32 0
		.amdhsa_float_round_mode_16_64 0
		.amdhsa_float_denorm_mode_32 3
		.amdhsa_float_denorm_mode_16_64 3
		.amdhsa_dx10_clamp 1
		.amdhsa_ieee_mode 1
		.amdhsa_fp16_overflow 0
		.amdhsa_exception_fp_ieee_invalid_op 0
		.amdhsa_exception_fp_denorm_src 0
		.amdhsa_exception_fp_ieee_div_zero 0
		.amdhsa_exception_fp_ieee_overflow 0
		.amdhsa_exception_fp_ieee_underflow 0
		.amdhsa_exception_fp_ieee_inexact 0
		.amdhsa_exception_int_div_zero 0
	.end_amdhsa_kernel
	.section	.text._ZN9rocsparseL10abs_kernelILi256EdEEviiPKT0_lPS1_,"axG",@progbits,_ZN9rocsparseL10abs_kernelILi256EdEEviiPKT0_lPS1_,comdat
.Lfunc_end3:
	.size	_ZN9rocsparseL10abs_kernelILi256EdEEviiPKT0_lPS1_, .Lfunc_end3-_ZN9rocsparseL10abs_kernelILi256EdEEviiPKT0_lPS1_
                                        ; -- End function
	.set _ZN9rocsparseL10abs_kernelILi256EdEEviiPKT0_lPS1_.num_vgpr, 7
	.set _ZN9rocsparseL10abs_kernelILi256EdEEviiPKT0_lPS1_.num_agpr, 0
	.set _ZN9rocsparseL10abs_kernelILi256EdEEviiPKT0_lPS1_.numbered_sgpr, 12
	.set _ZN9rocsparseL10abs_kernelILi256EdEEviiPKT0_lPS1_.num_named_barrier, 0
	.set _ZN9rocsparseL10abs_kernelILi256EdEEviiPKT0_lPS1_.private_seg_size, 0
	.set _ZN9rocsparseL10abs_kernelILi256EdEEviiPKT0_lPS1_.uses_vcc, 1
	.set _ZN9rocsparseL10abs_kernelILi256EdEEviiPKT0_lPS1_.uses_flat_scratch, 0
	.set _ZN9rocsparseL10abs_kernelILi256EdEEviiPKT0_lPS1_.has_dyn_sized_stack, 0
	.set _ZN9rocsparseL10abs_kernelILi256EdEEviiPKT0_lPS1_.has_recursion, 0
	.set _ZN9rocsparseL10abs_kernelILi256EdEEviiPKT0_lPS1_.has_indirect_call, 0
	.section	.AMDGPU.csdata,"",@progbits
; Kernel info:
; codeLenInByte = 332
; TotalNumSgprs: 16
; NumVgprs: 7
; ScratchSize: 0
; MemoryBound: 0
; FloatMode: 240
; IeeeMode: 1
; LDSByteSize: 0 bytes/workgroup (compile time only)
; SGPRBlocks: 1
; VGPRBlocks: 1
; NumSGPRsForWavesPerEU: 16
; NumVGPRsForWavesPerEU: 7
; Occupancy: 10
; WaveLimiterHint : 0
; COMPUTE_PGM_RSRC2:SCRATCH_EN: 0
; COMPUTE_PGM_RSRC2:USER_SGPR: 6
; COMPUTE_PGM_RSRC2:TRAP_HANDLER: 0
; COMPUTE_PGM_RSRC2:TGID_X_EN: 1
; COMPUTE_PGM_RSRC2:TGID_Y_EN: 0
; COMPUTE_PGM_RSRC2:TGID_Z_EN: 0
; COMPUTE_PGM_RSRC2:TIDIG_COMP_CNT: 0
	.section	.text._ZN9rocsparseL27prune_dense2csr_nnz_kernel2ILi64ELi16EdEEviiPKT1_lS3_Pi,"axG",@progbits,_ZN9rocsparseL27prune_dense2csr_nnz_kernel2ILi64ELi16EdEEviiPKT1_lS3_Pi,comdat
	.globl	_ZN9rocsparseL27prune_dense2csr_nnz_kernel2ILi64ELi16EdEEviiPKT1_lS3_Pi ; -- Begin function _ZN9rocsparseL27prune_dense2csr_nnz_kernel2ILi64ELi16EdEEviiPKT1_lS3_Pi
	.p2align	8
	.type	_ZN9rocsparseL27prune_dense2csr_nnz_kernel2ILi64ELi16EdEEviiPKT1_lS3_Pi,@function
_ZN9rocsparseL27prune_dense2csr_nnz_kernel2ILi64ELi16EdEEviiPKT1_lS3_Pi: ; @_ZN9rocsparseL27prune_dense2csr_nnz_kernel2ILi64ELi16EdEEviiPKT1_lS3_Pi
; %bb.0:
	s_load_dwordx8 s[8:15], s[4:5], 0x0
	s_load_dword s0, s[4:5], 0x34
	s_load_dwordx2 s[16:17], s[4:5], 0x20
	s_lshl_b32 s26, s6, 8
	v_mov_b32_e32 v5, 0
	s_waitcnt lgkmcnt(0)
	s_load_dwordx2 s[14:15], s[14:15], 0x0
	s_and_b32 s0, s0, 0xffff
	v_mad_u32_u24 v3, v1, s0, v0
	s_ashr_i32 s0, s9, 31
	s_lshr_b32 s0, s0, 26
	v_and_b32_e32 v4, 63, v3
	s_add_i32 s27, s9, s0
	v_lshrrev_b32_e32 v1, 4, v3
	v_or_b32_e32 v0, s26, v4
	s_andn2_b32 s27, s27, 63
	v_and_b32_e32 v6, 0x7ffffc, v1
	v_cmp_gt_i32_e32 vcc, s27, v6
	v_mov_b32_e32 v7, v5
	v_mov_b32_e32 v8, v5
	;; [unrolled: 1-line block ×3, first 2 shown]
	v_or_b32_e32 v10, 64, v0
	s_and_saveexec_b64 s[18:19], vcc
	s_cbranch_execz .LBB4_12
; %bb.1:
	v_lshrrev_b32_e32 v17, 6, v3
	v_lshlrev_b32_e32 v18, 2, v17
	v_or_b32_e32 v9, 2, v18
	v_mad_u64_u32 v[7:8], s[6:7], s12, v9, 0
	v_or_b32_e32 v11, 3, v18
	v_mad_u64_u32 v[13:14], s[6:7], s12, v11, 0
	v_mad_u64_u32 v[8:9], s[6:7], s13, v9, v[8:9]
	v_mov_b32_e32 v9, v14
	v_mad_u64_u32 v[14:15], s[6:7], s13, v11, v[9:10]
	v_lshlrev_b64 v[7:8], 3, v[7:8]
	v_mov_b32_e32 v12, s11
	v_add_co_u32_e64 v11, s[6:7], s10, v7
	v_addc_co_u32_e64 v12, s[6:7], v12, v8, s[6:7]
	v_mad_u64_u32 v[15:16], s[6:7], s12, v17, 0
	v_lshlrev_b64 v[7:8], 3, v[13:14]
	v_mov_b32_e32 v9, s11
	v_add_co_u32_e64 v13, s[6:7], s10, v7
	v_mov_b32_e32 v7, v16
	v_addc_co_u32_e64 v14, s[6:7], v9, v8, s[6:7]
	v_mad_u64_u32 v[7:8], s[6:7], s13, v17, v[7:8]
	v_mov_b32_e32 v8, s12
	v_mov_b32_e32 v9, s13
	v_mad_u64_u32 v[8:9], s[6:7], s12, v18, v[8:9]
	v_mov_b32_e32 v16, v7
	v_or_b32_e32 v1, 0x80, v0
	v_mov_b32_e32 v7, v9
	v_mad_u64_u32 v[17:18], s[6:7], s13, v18, v[7:8]
	v_lshlrev_b64 v[15:16], 5, v[15:16]
	v_cmp_gt_i32_e64 s[2:3], s8, v1
	v_or_b32_e32 v1, 0xc0, v0
	v_mov_b32_e32 v9, v17
	v_cmp_gt_i32_e64 s[4:5], s8, v1
	v_add_u32_e32 v1, s26, v4
	v_mov_b32_e32 v19, s11
	v_add_co_u32_e64 v15, s[6:7], s10, v15
	v_lshlrev_b64 v[7:8], 3, v[8:9]
	v_ashrrev_i32_e32 v2, 31, v1
	v_addc_co_u32_e64 v16, s[6:7], v19, v16, s[6:7]
	v_lshlrev_b64 v[1:2], 3, v[1:2]
	v_mov_b32_e32 v9, s11
	v_add_co_u32_e64 v17, s[6:7], s10, v7
	v_cmp_gt_i32_e32 vcc, s8, v0
	v_cmp_gt_i32_e64 s[0:1], s8, v10
	s_lshl_b64 s[20:21], s[12:13], 9
	v_addc_co_u32_e64 v18, s[6:7], v9, v8, s[6:7]
	v_mov_b32_e32 v7, v5
	v_mov_b32_e32 v8, v5
	;; [unrolled: 1-line block ×3, first 2 shown]
	s_mov_b64 s[22:23], 0
	s_branch .LBB4_3
.LBB4_2:                                ;   in Loop: Header=BB4_3 Depth=1
	s_or_b64 exec, exec, s[24:25]
	v_mov_b32_e32 v19, s21
	v_add_co_u32_e64 v11, s[6:7], s20, v11
	v_addc_co_u32_e64 v12, s[6:7], v12, v19, s[6:7]
	v_add_co_u32_e64 v13, s[6:7], s20, v13
	v_addc_co_u32_e64 v14, s[6:7], v14, v19, s[6:7]
	v_add_co_u32_e64 v15, s[6:7], s20, v15
	v_add_u32_e32 v6, 64, v6
	v_addc_co_u32_e64 v16, s[6:7], v16, v19, s[6:7]
	v_cmp_le_i32_e64 s[6:7], s27, v6
	s_or_b64 s[22:23], s[6:7], s[22:23]
	v_add_co_u32_e64 v17, s[6:7], s20, v17
	v_addc_co_u32_e64 v18, s[6:7], v18, v19, s[6:7]
	s_andn2_b64 exec, exec, s[22:23]
	s_cbranch_execz .LBB4_11
.LBB4_3:                                ; =>This Inner Loop Header: Depth=1
	s_and_saveexec_b64 s[24:25], vcc
	s_cbranch_execnz .LBB4_7
; %bb.4:                                ;   in Loop: Header=BB4_3 Depth=1
	s_or_b64 exec, exec, s[24:25]
	s_and_saveexec_b64 s[24:25], s[0:1]
	s_cbranch_execnz .LBB4_8
.LBB4_5:                                ;   in Loop: Header=BB4_3 Depth=1
	s_or_b64 exec, exec, s[24:25]
	s_and_saveexec_b64 s[24:25], s[2:3]
	s_cbranch_execnz .LBB4_9
.LBB4_6:                                ;   in Loop: Header=BB4_3 Depth=1
	s_or_b64 exec, exec, s[24:25]
	s_and_saveexec_b64 s[24:25], s[4:5]
	s_cbranch_execz .LBB4_2
	s_branch .LBB4_10
.LBB4_7:                                ;   in Loop: Header=BB4_3 Depth=1
	v_add_co_u32_e64 v19, s[6:7], v15, v1
	v_addc_co_u32_e64 v20, s[6:7], v16, v2, s[6:7]
	global_load_dwordx2 v[19:20], v[19:20], off
	v_add_co_u32_e64 v21, s[6:7], v17, v1
	v_addc_co_u32_e64 v22, s[6:7], v18, v2, s[6:7]
	v_add_co_u32_e64 v23, s[6:7], v11, v1
	v_addc_co_u32_e64 v24, s[6:7], v12, v2, s[6:7]
	global_load_dwordx2 v[23:24], v[23:24], off
	v_add_co_u32_e64 v25, s[6:7], v13, v1
	global_load_dwordx2 v[21:22], v[21:22], off
	v_addc_co_u32_e64 v26, s[6:7], v14, v2, s[6:7]
	global_load_dwordx2 v[25:26], v[25:26], off
	s_waitcnt vmcnt(3) lgkmcnt(0)
	v_cmp_gt_f64_e64 s[6:7], |v[19:20]|, s[14:15]
	v_cndmask_b32_e64 v19, 0, 1, s[6:7]
	s_waitcnt vmcnt(2)
	v_cmp_gt_f64_e64 s[6:7], |v[23:24]|, s[14:15]
	v_cndmask_b32_e64 v20, 0, 1, s[6:7]
	s_waitcnt vmcnt(1)
	v_cmp_gt_f64_e64 s[6:7], |v[21:22]|, s[14:15]
	v_addc_co_u32_e64 v5, s[6:7], v5, v19, s[6:7]
	s_waitcnt vmcnt(0)
	v_cmp_gt_f64_e64 s[6:7], |v[25:26]|, s[14:15]
	v_addc_co_u32_e64 v5, s[6:7], v5, v20, s[6:7]
	s_or_b64 exec, exec, s[24:25]
	s_and_saveexec_b64 s[24:25], s[0:1]
	s_cbranch_execz .LBB4_5
.LBB4_8:                                ;   in Loop: Header=BB4_3 Depth=1
	v_add_co_u32_e64 v19, s[6:7], v15, v1
	v_addc_co_u32_e64 v20, s[6:7], v16, v2, s[6:7]
	global_load_dwordx2 v[19:20], v[19:20], off offset:512
	v_add_co_u32_e64 v21, s[6:7], v17, v1
	v_addc_co_u32_e64 v22, s[6:7], v18, v2, s[6:7]
	v_add_co_u32_e64 v23, s[6:7], v11, v1
	v_addc_co_u32_e64 v24, s[6:7], v12, v2, s[6:7]
	global_load_dwordx2 v[23:24], v[23:24], off offset:512
	v_add_co_u32_e64 v25, s[6:7], v13, v1
	global_load_dwordx2 v[21:22], v[21:22], off offset:512
	v_addc_co_u32_e64 v26, s[6:7], v14, v2, s[6:7]
	global_load_dwordx2 v[25:26], v[25:26], off offset:512
	s_waitcnt vmcnt(3) lgkmcnt(0)
	v_cmp_gt_f64_e64 s[6:7], |v[19:20]|, s[14:15]
	v_cndmask_b32_e64 v19, 0, 1, s[6:7]
	s_waitcnt vmcnt(2)
	v_cmp_gt_f64_e64 s[6:7], |v[23:24]|, s[14:15]
	v_cndmask_b32_e64 v20, 0, 1, s[6:7]
	s_waitcnt vmcnt(1)
	v_cmp_gt_f64_e64 s[6:7], |v[21:22]|, s[14:15]
	v_addc_co_u32_e64 v7, s[6:7], v7, v19, s[6:7]
	s_waitcnt vmcnt(0)
	v_cmp_gt_f64_e64 s[6:7], |v[25:26]|, s[14:15]
	v_addc_co_u32_e64 v7, s[6:7], v7, v20, s[6:7]
	s_or_b64 exec, exec, s[24:25]
	s_and_saveexec_b64 s[24:25], s[2:3]
	s_cbranch_execz .LBB4_6
.LBB4_9:                                ;   in Loop: Header=BB4_3 Depth=1
	v_add_co_u32_e64 v19, s[6:7], v15, v1
	v_addc_co_u32_e64 v20, s[6:7], v16, v2, s[6:7]
	global_load_dwordx2 v[19:20], v[19:20], off offset:1024
	v_add_co_u32_e64 v21, s[6:7], v17, v1
	v_addc_co_u32_e64 v22, s[6:7], v18, v2, s[6:7]
	v_add_co_u32_e64 v23, s[6:7], v11, v1
	v_addc_co_u32_e64 v24, s[6:7], v12, v2, s[6:7]
	global_load_dwordx2 v[23:24], v[23:24], off offset:1024
	v_add_co_u32_e64 v25, s[6:7], v13, v1
	global_load_dwordx2 v[21:22], v[21:22], off offset:1024
	v_addc_co_u32_e64 v26, s[6:7], v14, v2, s[6:7]
	global_load_dwordx2 v[25:26], v[25:26], off offset:1024
	s_waitcnt vmcnt(3) lgkmcnt(0)
	v_cmp_gt_f64_e64 s[6:7], |v[19:20]|, s[14:15]
	v_cndmask_b32_e64 v19, 0, 1, s[6:7]
	s_waitcnt vmcnt(2)
	v_cmp_gt_f64_e64 s[6:7], |v[23:24]|, s[14:15]
	v_cndmask_b32_e64 v20, 0, 1, s[6:7]
	s_waitcnt vmcnt(1)
	v_cmp_gt_f64_e64 s[6:7], |v[21:22]|, s[14:15]
	v_addc_co_u32_e64 v8, s[6:7], v8, v19, s[6:7]
	s_waitcnt vmcnt(0)
	v_cmp_gt_f64_e64 s[6:7], |v[25:26]|, s[14:15]
	v_addc_co_u32_e64 v8, s[6:7], v8, v20, s[6:7]
	s_or_b64 exec, exec, s[24:25]
	s_and_saveexec_b64 s[24:25], s[4:5]
	s_cbranch_execz .LBB4_2
.LBB4_10:                               ;   in Loop: Header=BB4_3 Depth=1
	v_add_co_u32_e64 v19, s[6:7], v15, v1
	v_addc_co_u32_e64 v20, s[6:7], v16, v2, s[6:7]
	global_load_dwordx2 v[19:20], v[19:20], off offset:1536
	v_add_co_u32_e64 v21, s[6:7], v17, v1
	v_addc_co_u32_e64 v22, s[6:7], v18, v2, s[6:7]
	v_add_co_u32_e64 v23, s[6:7], v11, v1
	v_addc_co_u32_e64 v24, s[6:7], v12, v2, s[6:7]
	global_load_dwordx2 v[23:24], v[23:24], off offset:1536
	v_add_co_u32_e64 v25, s[6:7], v13, v1
	global_load_dwordx2 v[21:22], v[21:22], off offset:1536
	v_addc_co_u32_e64 v26, s[6:7], v14, v2, s[6:7]
	global_load_dwordx2 v[25:26], v[25:26], off offset:1536
	s_waitcnt vmcnt(3) lgkmcnt(0)
	v_cmp_gt_f64_e64 s[6:7], |v[19:20]|, s[14:15]
	v_cndmask_b32_e64 v19, 0, 1, s[6:7]
	s_waitcnt vmcnt(2)
	v_cmp_gt_f64_e64 s[6:7], |v[23:24]|, s[14:15]
	v_cndmask_b32_e64 v20, 0, 1, s[6:7]
	s_waitcnt vmcnt(1)
	v_cmp_gt_f64_e64 s[6:7], |v[21:22]|, s[14:15]
	v_addc_co_u32_e64 v9, s[6:7], v9, v19, s[6:7]
	s_waitcnt vmcnt(0)
	v_cmp_gt_f64_e64 s[6:7], |v[25:26]|, s[14:15]
	v_addc_co_u32_e64 v9, s[6:7], v9, v20, s[6:7]
	s_branch .LBB4_2
.LBB4_11:
	s_or_b64 exec, exec, s[22:23]
.LBB4_12:
	s_or_b64 exec, exec, s[18:19]
	s_sub_i32 s0, s9, s27
	s_cmp_lt_i32 s0, 1
	s_cbranch_scc1 .LBB4_54
; %bb.13:
	v_cmp_gt_i32_e32 vcc, s8, v0
	v_ashrrev_i32_e32 v1, 31, v0
	s_and_saveexec_b64 s[0:1], vcc
	s_cbranch_execz .LBB4_23
; %bb.14:
	v_lshlrev_b64 v[11:12], 3, v[0:1]
	v_mov_b32_e32 v13, s11
	v_add_co_u32_e32 v2, vcc, s10, v11
	v_addc_co_u32_e32 v11, vcc, v13, v12, vcc
	v_cmp_gt_i32_e32 vcc, s9, v6
	s_and_saveexec_b64 s[2:3], vcc
	s_cbranch_execz .LBB4_16
; %bb.15:
	v_mad_u64_u32 v[12:13], s[4:5], s12, v6, 0
	v_mad_u64_u32 v[13:14], s[4:5], s13, v6, v[13:14]
	v_lshlrev_b64 v[12:13], 3, v[12:13]
	v_add_co_u32_e32 v12, vcc, v2, v12
	v_addc_co_u32_e32 v13, vcc, v11, v13, vcc
	global_load_dwordx2 v[12:13], v[12:13], off
	s_waitcnt vmcnt(0) lgkmcnt(0)
	v_cmp_gt_f64_e64 vcc, |v[12:13]|, s[14:15]
	v_addc_co_u32_e32 v5, vcc, 0, v5, vcc
.LBB4_16:
	s_or_b64 exec, exec, s[2:3]
	v_or_b32_e32 v12, 1, v6
	v_cmp_gt_i32_e32 vcc, s9, v12
	s_and_saveexec_b64 s[2:3], vcc
	s_cbranch_execz .LBB4_18
; %bb.17:
	v_mad_u64_u32 v[13:14], s[4:5], s12, v12, 0
	v_mad_u64_u32 v[14:15], s[4:5], s13, v12, v[14:15]
	v_lshlrev_b64 v[12:13], 3, v[13:14]
	v_add_co_u32_e32 v12, vcc, v2, v12
	v_addc_co_u32_e32 v13, vcc, v11, v13, vcc
	global_load_dwordx2 v[12:13], v[12:13], off
	s_waitcnt vmcnt(0) lgkmcnt(0)
	v_cmp_gt_f64_e64 vcc, |v[12:13]|, s[14:15]
	v_addc_co_u32_e32 v5, vcc, 0, v5, vcc
.LBB4_18:
	s_or_b64 exec, exec, s[2:3]
	v_or_b32_e32 v12, 2, v6
	;; [unrolled: 16-line block ×3, first 2 shown]
	v_cmp_gt_i32_e32 vcc, s9, v12
	s_and_saveexec_b64 s[2:3], vcc
	s_cbranch_execz .LBB4_22
; %bb.21:
	v_mad_u64_u32 v[13:14], s[4:5], s12, v12, 0
	v_mad_u64_u32 v[14:15], s[4:5], s13, v12, v[14:15]
	v_lshlrev_b64 v[12:13], 3, v[13:14]
	v_add_co_u32_e32 v12, vcc, v2, v12
	v_addc_co_u32_e32 v13, vcc, v11, v13, vcc
	global_load_dwordx2 v[11:12], v[12:13], off
	s_waitcnt vmcnt(0) lgkmcnt(0)
	v_cmp_gt_f64_e64 vcc, |v[11:12]|, s[14:15]
	v_addc_co_u32_e32 v5, vcc, 0, v5, vcc
.LBB4_22:
	s_or_b64 exec, exec, s[2:3]
.LBB4_23:
	s_or_b64 exec, exec, s[0:1]
	v_cmp_gt_i32_e32 vcc, s8, v10
	s_and_saveexec_b64 s[0:1], vcc
	s_cbranch_execz .LBB4_33
; %bb.24:
	v_lshlrev_b64 v[10:11], 3, v[0:1]
	v_mov_b32_e32 v12, s11
	v_add_co_u32_e32 v2, vcc, s10, v10
	v_addc_co_u32_e32 v10, vcc, v12, v11, vcc
	v_cmp_gt_i32_e32 vcc, s9, v6
	s_and_saveexec_b64 s[2:3], vcc
	s_cbranch_execz .LBB4_26
; %bb.25:
	v_mad_u64_u32 v[11:12], s[4:5], s12, v6, 0
	v_mad_u64_u32 v[12:13], s[4:5], s13, v6, v[12:13]
	v_lshlrev_b64 v[11:12], 3, v[11:12]
	v_add_co_u32_e32 v11, vcc, v2, v11
	v_addc_co_u32_e32 v12, vcc, v10, v12, vcc
	global_load_dwordx2 v[11:12], v[11:12], off offset:512
	s_waitcnt vmcnt(0) lgkmcnt(0)
	v_cmp_gt_f64_e64 vcc, |v[11:12]|, s[14:15]
	v_addc_co_u32_e32 v7, vcc, 0, v7, vcc
.LBB4_26:
	s_or_b64 exec, exec, s[2:3]
	v_or_b32_e32 v11, 1, v6
	v_cmp_gt_i32_e32 vcc, s9, v11
	s_and_saveexec_b64 s[2:3], vcc
	s_cbranch_execz .LBB4_28
; %bb.27:
	v_mad_u64_u32 v[12:13], s[4:5], s12, v11, 0
	v_mad_u64_u32 v[13:14], s[4:5], s13, v11, v[13:14]
	v_lshlrev_b64 v[11:12], 3, v[12:13]
	v_add_co_u32_e32 v11, vcc, v2, v11
	v_addc_co_u32_e32 v12, vcc, v10, v12, vcc
	global_load_dwordx2 v[11:12], v[11:12], off offset:512
	s_waitcnt vmcnt(0) lgkmcnt(0)
	v_cmp_gt_f64_e64 vcc, |v[11:12]|, s[14:15]
	v_addc_co_u32_e32 v7, vcc, 0, v7, vcc
.LBB4_28:
	s_or_b64 exec, exec, s[2:3]
	v_or_b32_e32 v11, 2, v6
	;; [unrolled: 16-line block ×3, first 2 shown]
	v_cmp_gt_i32_e32 vcc, s9, v11
	s_and_saveexec_b64 s[2:3], vcc
	s_cbranch_execz .LBB4_32
; %bb.31:
	v_mad_u64_u32 v[12:13], s[4:5], s12, v11, 0
	v_mad_u64_u32 v[13:14], s[4:5], s13, v11, v[13:14]
	v_lshlrev_b64 v[11:12], 3, v[12:13]
	v_add_co_u32_e32 v11, vcc, v2, v11
	v_addc_co_u32_e32 v12, vcc, v10, v12, vcc
	global_load_dwordx2 v[10:11], v[11:12], off offset:512
	s_waitcnt vmcnt(0) lgkmcnt(0)
	v_cmp_gt_f64_e64 vcc, |v[10:11]|, s[14:15]
	v_addc_co_u32_e32 v7, vcc, 0, v7, vcc
.LBB4_32:
	s_or_b64 exec, exec, s[2:3]
.LBB4_33:
	s_or_b64 exec, exec, s[0:1]
	v_or_b32_e32 v2, 0x80, v0
	v_cmp_gt_i32_e32 vcc, s8, v2
	s_and_saveexec_b64 s[0:1], vcc
	s_cbranch_execz .LBB4_43
; %bb.34:
	v_lshlrev_b64 v[10:11], 3, v[0:1]
	v_mov_b32_e32 v12, s11
	v_add_co_u32_e32 v2, vcc, s10, v10
	v_addc_co_u32_e32 v10, vcc, v12, v11, vcc
	v_cmp_gt_i32_e32 vcc, s9, v6
	s_and_saveexec_b64 s[2:3], vcc
	s_cbranch_execz .LBB4_36
; %bb.35:
	v_mad_u64_u32 v[11:12], s[4:5], s12, v6, 0
	v_mad_u64_u32 v[12:13], s[4:5], s13, v6, v[12:13]
	v_lshlrev_b64 v[11:12], 3, v[11:12]
	v_add_co_u32_e32 v11, vcc, v2, v11
	v_addc_co_u32_e32 v12, vcc, v10, v12, vcc
	global_load_dwordx2 v[11:12], v[11:12], off offset:1024
	s_waitcnt vmcnt(0) lgkmcnt(0)
	v_cmp_gt_f64_e64 vcc, |v[11:12]|, s[14:15]
	v_addc_co_u32_e32 v8, vcc, 0, v8, vcc
.LBB4_36:
	s_or_b64 exec, exec, s[2:3]
	v_or_b32_e32 v11, 1, v6
	v_cmp_gt_i32_e32 vcc, s9, v11
	s_and_saveexec_b64 s[2:3], vcc
	s_cbranch_execz .LBB4_38
; %bb.37:
	v_mad_u64_u32 v[12:13], s[4:5], s12, v11, 0
	v_mad_u64_u32 v[13:14], s[4:5], s13, v11, v[13:14]
	v_lshlrev_b64 v[11:12], 3, v[12:13]
	v_add_co_u32_e32 v11, vcc, v2, v11
	v_addc_co_u32_e32 v12, vcc, v10, v12, vcc
	global_load_dwordx2 v[11:12], v[11:12], off offset:1024
	s_waitcnt vmcnt(0) lgkmcnt(0)
	v_cmp_gt_f64_e64 vcc, |v[11:12]|, s[14:15]
	v_addc_co_u32_e32 v8, vcc, 0, v8, vcc
.LBB4_38:
	s_or_b64 exec, exec, s[2:3]
	v_or_b32_e32 v11, 2, v6
	;; [unrolled: 16-line block ×3, first 2 shown]
	v_cmp_gt_i32_e32 vcc, s9, v11
	s_and_saveexec_b64 s[2:3], vcc
	s_cbranch_execz .LBB4_42
; %bb.41:
	v_mad_u64_u32 v[12:13], s[4:5], s12, v11, 0
	v_mad_u64_u32 v[13:14], s[4:5], s13, v11, v[13:14]
	v_lshlrev_b64 v[11:12], 3, v[12:13]
	v_add_co_u32_e32 v11, vcc, v2, v11
	v_addc_co_u32_e32 v12, vcc, v10, v12, vcc
	global_load_dwordx2 v[10:11], v[11:12], off offset:1024
	s_waitcnt vmcnt(0) lgkmcnt(0)
	v_cmp_gt_f64_e64 vcc, |v[10:11]|, s[14:15]
	v_addc_co_u32_e32 v8, vcc, 0, v8, vcc
.LBB4_42:
	s_or_b64 exec, exec, s[2:3]
.LBB4_43:
	s_or_b64 exec, exec, s[0:1]
	v_or_b32_e32 v2, 0xc0, v0
	v_cmp_gt_i32_e32 vcc, s8, v2
	s_and_saveexec_b64 s[0:1], vcc
	s_cbranch_execz .LBB4_53
; %bb.44:
	v_lshlrev_b64 v[0:1], 3, v[0:1]
	v_mov_b32_e32 v2, s11
	v_add_co_u32_e32 v0, vcc, s10, v0
	v_addc_co_u32_e32 v1, vcc, v2, v1, vcc
	v_cmp_gt_i32_e32 vcc, s9, v6
	s_and_saveexec_b64 s[2:3], vcc
	s_cbranch_execz .LBB4_46
; %bb.45:
	v_mad_u64_u32 v[10:11], s[4:5], s12, v6, 0
	v_mov_b32_e32 v2, v11
	v_mad_u64_u32 v[11:12], s[4:5], s13, v6, v[2:3]
	v_lshlrev_b64 v[10:11], 3, v[10:11]
	v_add_co_u32_e32 v10, vcc, v0, v10
	v_addc_co_u32_e32 v11, vcc, v1, v11, vcc
	global_load_dwordx2 v[10:11], v[10:11], off offset:1536
	s_waitcnt vmcnt(0) lgkmcnt(0)
	v_cmp_gt_f64_e64 vcc, |v[10:11]|, s[14:15]
	v_addc_co_u32_e32 v9, vcc, 0, v9, vcc
.LBB4_46:
	s_or_b64 exec, exec, s[2:3]
	v_or_b32_e32 v2, 1, v6
	v_cmp_gt_i32_e32 vcc, s9, v2
	s_and_saveexec_b64 s[2:3], vcc
	s_cbranch_execz .LBB4_48
; %bb.47:
	v_mad_u64_u32 v[10:11], s[4:5], s12, v2, 0
	v_mad_u64_u32 v[11:12], s[4:5], s13, v2, v[11:12]
	v_lshlrev_b64 v[10:11], 3, v[10:11]
	v_add_co_u32_e32 v10, vcc, v0, v10
	v_addc_co_u32_e32 v11, vcc, v1, v11, vcc
	global_load_dwordx2 v[10:11], v[10:11], off offset:1536
	s_waitcnt vmcnt(0) lgkmcnt(0)
	v_cmp_gt_f64_e64 vcc, |v[10:11]|, s[14:15]
	v_addc_co_u32_e32 v9, vcc, 0, v9, vcc
.LBB4_48:
	s_or_b64 exec, exec, s[2:3]
	v_or_b32_e32 v2, 2, v6
	v_cmp_gt_i32_e32 vcc, s9, v2
	s_and_saveexec_b64 s[2:3], vcc
	s_cbranch_execz .LBB4_50
; %bb.49:
	v_mad_u64_u32 v[10:11], s[4:5], s12, v2, 0
	v_mad_u64_u32 v[11:12], s[4:5], s13, v2, v[11:12]
	v_lshlrev_b64 v[10:11], 3, v[10:11]
	v_add_co_u32_e32 v10, vcc, v0, v10
	v_addc_co_u32_e32 v11, vcc, v1, v11, vcc
	global_load_dwordx2 v[10:11], v[10:11], off offset:1536
	s_waitcnt vmcnt(0) lgkmcnt(0)
	v_cmp_gt_f64_e64 vcc, |v[10:11]|, s[14:15]
	v_addc_co_u32_e32 v9, vcc, 0, v9, vcc
.LBB4_50:
	s_or_b64 exec, exec, s[2:3]
	v_or_b32_e32 v2, 3, v6
	v_cmp_gt_i32_e32 vcc, s9, v2
	s_and_saveexec_b64 s[2:3], vcc
	s_cbranch_execz .LBB4_52
; %bb.51:
	v_mad_u64_u32 v[10:11], s[4:5], s12, v2, 0
	v_mov_b32_e32 v6, v11
	v_mad_u64_u32 v[11:12], s[4:5], s13, v2, v[6:7]
	v_lshlrev_b64 v[10:11], 3, v[10:11]
	v_add_co_u32_e32 v0, vcc, v0, v10
	v_addc_co_u32_e32 v1, vcc, v1, v11, vcc
	global_load_dwordx2 v[0:1], v[0:1], off offset:1536
	s_waitcnt vmcnt(0) lgkmcnt(0)
	v_cmp_gt_f64_e64 vcc, |v[0:1]|, s[14:15]
	v_addc_co_u32_e32 v9, vcc, 0, v9, vcc
.LBB4_52:
	s_or_b64 exec, exec, s[2:3]
.LBB4_53:
	s_or_b64 exec, exec, s[0:1]
.LBB4_54:
	v_lshlrev_b32_e32 v0, 4, v3
	v_lshlrev_b32_e32 v1, 2, v4
	s_mov_b32 s0, 0x7ffffc00
	v_and_or_b32 v0, v0, s0, v1
	s_movk_i32 s0, 0x100
	v_cmp_gt_u32_e32 vcc, s0, v3
	ds_write2st64_b32 v0, v5, v7 offset1:1
	ds_write2st64_b32 v0, v8, v9 offset0:2 offset1:3
	s_waitcnt lgkmcnt(0)
	s_barrier
	s_and_saveexec_b64 s[0:1], vcc
	s_cbranch_execz .LBB4_57
; %bb.55:
	v_lshlrev_b32_e32 v12, 2, v3
	ds_read2st64_b32 v[1:2], v12 offset1:4
	ds_read2st64_b32 v[4:5], v12 offset0:8 offset1:12
	ds_read2st64_b32 v[6:7], v12 offset0:16 offset1:20
	;; [unrolled: 1-line block ×3, first 2 shown]
	v_or_b32_e32 v0, s26, v3
	s_waitcnt lgkmcnt(3)
	v_add_u32_e32 v1, v2, v1
	s_waitcnt lgkmcnt(2)
	v_add3_u32 v1, v1, v4, v5
	s_waitcnt lgkmcnt(1)
	v_add3_u32 v7, v1, v6, v7
	ds_read2st64_b32 v[1:2], v12 offset0:32 offset1:36
	ds_read2st64_b32 v[3:4], v12 offset0:40 offset1:44
	;; [unrolled: 1-line block ×4, first 2 shown]
	s_waitcnt lgkmcnt(4)
	v_add3_u32 v7, v7, v8, v9
	s_waitcnt lgkmcnt(3)
	v_add3_u32 v1, v7, v1, v2
	;; [unrolled: 2-line block ×5, first 2 shown]
	v_cmp_gt_i32_e32 vcc, s8, v0
	ds_write_b32 v12, v2
	s_and_b64 exec, exec, vcc
	s_cbranch_execz .LBB4_57
; %bb.56:
	v_ashrrev_i32_e32 v1, 31, v0
	v_lshlrev_b64 v[0:1], 2, v[0:1]
	v_mov_b32_e32 v3, s17
	v_add_co_u32_e32 v0, vcc, s16, v0
	v_addc_co_u32_e32 v1, vcc, v3, v1, vcc
	global_store_dword v[0:1], v2, off
.LBB4_57:
	s_endpgm
	.section	.rodata,"a",@progbits
	.p2align	6, 0x0
	.amdhsa_kernel _ZN9rocsparseL27prune_dense2csr_nnz_kernel2ILi64ELi16EdEEviiPKT1_lS3_Pi
		.amdhsa_group_segment_fixed_size 16384
		.amdhsa_private_segment_fixed_size 0
		.amdhsa_kernarg_size 296
		.amdhsa_user_sgpr_count 6
		.amdhsa_user_sgpr_private_segment_buffer 1
		.amdhsa_user_sgpr_dispatch_ptr 0
		.amdhsa_user_sgpr_queue_ptr 0
		.amdhsa_user_sgpr_kernarg_segment_ptr 1
		.amdhsa_user_sgpr_dispatch_id 0
		.amdhsa_user_sgpr_flat_scratch_init 0
		.amdhsa_user_sgpr_private_segment_size 0
		.amdhsa_uses_dynamic_stack 0
		.amdhsa_system_sgpr_private_segment_wavefront_offset 0
		.amdhsa_system_sgpr_workgroup_id_x 1
		.amdhsa_system_sgpr_workgroup_id_y 0
		.amdhsa_system_sgpr_workgroup_id_z 0
		.amdhsa_system_sgpr_workgroup_info 0
		.amdhsa_system_vgpr_workitem_id 1
		.amdhsa_next_free_vgpr 29
		.amdhsa_next_free_sgpr 61
		.amdhsa_reserve_vcc 1
		.amdhsa_reserve_flat_scratch 0
		.amdhsa_float_round_mode_32 0
		.amdhsa_float_round_mode_16_64 0
		.amdhsa_float_denorm_mode_32 3
		.amdhsa_float_denorm_mode_16_64 3
		.amdhsa_dx10_clamp 1
		.amdhsa_ieee_mode 1
		.amdhsa_fp16_overflow 0
		.amdhsa_exception_fp_ieee_invalid_op 0
		.amdhsa_exception_fp_denorm_src 0
		.amdhsa_exception_fp_ieee_div_zero 0
		.amdhsa_exception_fp_ieee_overflow 0
		.amdhsa_exception_fp_ieee_underflow 0
		.amdhsa_exception_fp_ieee_inexact 0
		.amdhsa_exception_int_div_zero 0
	.end_amdhsa_kernel
	.section	.text._ZN9rocsparseL27prune_dense2csr_nnz_kernel2ILi64ELi16EdEEviiPKT1_lS3_Pi,"axG",@progbits,_ZN9rocsparseL27prune_dense2csr_nnz_kernel2ILi64ELi16EdEEviiPKT1_lS3_Pi,comdat
.Lfunc_end4:
	.size	_ZN9rocsparseL27prune_dense2csr_nnz_kernel2ILi64ELi16EdEEviiPKT1_lS3_Pi, .Lfunc_end4-_ZN9rocsparseL27prune_dense2csr_nnz_kernel2ILi64ELi16EdEEviiPKT1_lS3_Pi
                                        ; -- End function
	.set _ZN9rocsparseL27prune_dense2csr_nnz_kernel2ILi64ELi16EdEEviiPKT1_lS3_Pi.num_vgpr, 27
	.set _ZN9rocsparseL27prune_dense2csr_nnz_kernel2ILi64ELi16EdEEviiPKT1_lS3_Pi.num_agpr, 0
	.set _ZN9rocsparseL27prune_dense2csr_nnz_kernel2ILi64ELi16EdEEviiPKT1_lS3_Pi.numbered_sgpr, 28
	.set _ZN9rocsparseL27prune_dense2csr_nnz_kernel2ILi64ELi16EdEEviiPKT1_lS3_Pi.num_named_barrier, 0
	.set _ZN9rocsparseL27prune_dense2csr_nnz_kernel2ILi64ELi16EdEEviiPKT1_lS3_Pi.private_seg_size, 0
	.set _ZN9rocsparseL27prune_dense2csr_nnz_kernel2ILi64ELi16EdEEviiPKT1_lS3_Pi.uses_vcc, 1
	.set _ZN9rocsparseL27prune_dense2csr_nnz_kernel2ILi64ELi16EdEEviiPKT1_lS3_Pi.uses_flat_scratch, 0
	.set _ZN9rocsparseL27prune_dense2csr_nnz_kernel2ILi64ELi16EdEEviiPKT1_lS3_Pi.has_dyn_sized_stack, 0
	.set _ZN9rocsparseL27prune_dense2csr_nnz_kernel2ILi64ELi16EdEEviiPKT1_lS3_Pi.has_recursion, 0
	.set _ZN9rocsparseL27prune_dense2csr_nnz_kernel2ILi64ELi16EdEEviiPKT1_lS3_Pi.has_indirect_call, 0
	.section	.AMDGPU.csdata,"",@progbits
; Kernel info:
; codeLenInByte = 2992
; TotalNumSgprs: 32
; NumVgprs: 27
; ScratchSize: 0
; MemoryBound: 0
; FloatMode: 240
; IeeeMode: 1
; LDSByteSize: 16384 bytes/workgroup (compile time only)
; SGPRBlocks: 8
; VGPRBlocks: 7
; NumSGPRsForWavesPerEU: 65
; NumVGPRsForWavesPerEU: 29
; Occupancy: 8
; WaveLimiterHint : 0
; COMPUTE_PGM_RSRC2:SCRATCH_EN: 0
; COMPUTE_PGM_RSRC2:USER_SGPR: 6
; COMPUTE_PGM_RSRC2:TRAP_HANDLER: 0
; COMPUTE_PGM_RSRC2:TGID_X_EN: 1
; COMPUTE_PGM_RSRC2:TGID_Y_EN: 0
; COMPUTE_PGM_RSRC2:TGID_Z_EN: 0
; COMPUTE_PGM_RSRC2:TIDIG_COMP_CNT: 1
	.section	.text._ZN9rocsparseL38prune_dense2csr_kernel2_device_pointerILi16ELi32EfEEv21rocsparse_index_base_iiPKT1_lS4_PS2_PKiPi,"axG",@progbits,_ZN9rocsparseL38prune_dense2csr_kernel2_device_pointerILi16ELi32EfEEv21rocsparse_index_base_iiPKT1_lS4_PS2_PKiPi,comdat
	.globl	_ZN9rocsparseL38prune_dense2csr_kernel2_device_pointerILi16ELi32EfEEv21rocsparse_index_base_iiPKT1_lS4_PS2_PKiPi ; -- Begin function _ZN9rocsparseL38prune_dense2csr_kernel2_device_pointerILi16ELi32EfEEv21rocsparse_index_base_iiPKT1_lS4_PS2_PKiPi
	.p2align	8
	.type	_ZN9rocsparseL38prune_dense2csr_kernel2_device_pointerILi16ELi32EfEEv21rocsparse_index_base_iiPKT1_lS4_PS2_PKiPi,@function
_ZN9rocsparseL38prune_dense2csr_kernel2_device_pointerILi16ELi32EfEEv21rocsparse_index_base_iiPKT1_lS4_PS2_PKiPi: ; @_ZN9rocsparseL38prune_dense2csr_kernel2_device_pointerILi16ELi32EfEEv21rocsparse_index_base_iiPKT1_lS4_PS2_PKiPi
; %bb.0:
	s_load_dwordx4 s[0:3], s[4:5], 0x0
	v_lshrrev_b32_e32 v1, 5, v0
	v_lshl_or_b32 v1, s6, 4, v1
	s_waitcnt lgkmcnt(0)
	v_cmp_gt_i32_e32 vcc, s1, v1
	s_and_saveexec_b64 s[6:7], vcc
	s_cbranch_execz .LBB5_6
; %bb.1:
	v_and_b32_e32 v3, 31, v0
	v_cmp_gt_i32_e32 vcc, s2, v3
	s_and_b64 exec, exec, vcc
	s_cbranch_execz .LBB5_6
; %bb.2:
	s_load_dwordx8 s[8:15], s[4:5], 0x18
	v_ashrrev_i32_e32 v2, 31, v1
	v_lshlrev_b64 v[0:1], 2, v[1:2]
	s_waitcnt lgkmcnt(0)
	v_mov_b32_e32 v2, s15
	v_add_co_u32_e32 v4, vcc, s14, v0
	v_addc_co_u32_e32 v5, vcc, v2, v1, vcc
	global_load_dword v8, v[4:5], off
	s_load_dwordx2 s[14:15], s[4:5], 0x10
	s_load_dwordx2 s[6:7], s[4:5], 0x38
	v_mad_u64_u32 v[5:6], s[4:5], s8, v3, 0
	v_mbcnt_lo_u32_b32 v4, -1, 0
	s_load_dword s1, s[10:11], 0x0
	v_mad_u64_u32 v[6:7], s[4:5], s9, v3, v[6:7]
	v_mbcnt_hi_u32_b32 v4, -1, v4
	v_lshlrev_b32_e32 v4, 2, v4
	v_lshlrev_b64 v[5:6], 2, v[5:6]
	v_xor_b32_e32 v2, 31, v3
	v_add_co_u32_e32 v0, vcc, v5, v0
	v_addc_co_u32_e32 v1, vcc, v6, v1, vcc
	v_and_b32_e32 v4, 0x100, v4
	s_waitcnt lgkmcnt(0)
	v_mov_b32_e32 v7, s15
	v_add_co_u32_e32 v0, vcc, s14, v0
	v_lshrrev_b32_e64 v2, v2, -1
	v_or_b32_e32 v4, 0x7c, v4
	s_lshl_b64 s[4:5], s[8:9], 7
	v_addc_co_u32_e32 v1, vcc, v7, v1, vcc
	s_mov_b64 s[8:9], 0
	s_waitcnt vmcnt(0)
	v_subrev_u32_e32 v5, s0, v8
	s_branch .LBB5_4
.LBB5_3:                                ;   in Loop: Header=BB5_4 Depth=1
	s_or_b64 exec, exec, s[10:11]
	ds_bpermute_b32 v6, v4, v6
	v_add_u32_e32 v3, 32, v3
	v_cmp_le_i32_e32 vcc, s2, v3
	v_mov_b32_e32 v7, s5
	s_or_b64 s[8:9], vcc, s[8:9]
	v_add_co_u32_e32 v0, vcc, s4, v0
	s_waitcnt lgkmcnt(0)
	v_add_u32_e32 v5, v6, v5
	v_addc_co_u32_e32 v1, vcc, v1, v7, vcc
	s_andn2_b64 exec, exec, s[8:9]
	s_cbranch_execz .LBB5_6
.LBB5_4:                                ; =>This Inner Loop Header: Depth=1
	s_waitcnt vmcnt(0)
	s_barrier
	global_load_dword v7, v[0:1], off
	s_waitcnt vmcnt(0)
	v_cmp_gt_f32_e64 s[14:15], |v7|, s1
	v_and_b32_e32 v6, s14, v2
	v_bcnt_u32_b32 v6, v6, 0
	s_and_saveexec_b64 s[10:11], s[14:15]
	s_cbranch_execz .LBB5_3
; %bb.5:                                ;   in Loop: Header=BB5_4 Depth=1
	v_ashrrev_i32_e32 v9, 31, v5
	v_add_co_u32_e32 v8, vcc, v5, v6
	v_addc_co_u32_e32 v9, vcc, 0, v9, vcc
	v_lshlrev_b64 v[8:9], 2, v[8:9]
	v_mov_b32_e32 v11, s13
	v_add_co_u32_e32 v10, vcc, s12, v8
	v_addc_co_u32_e32 v11, vcc, v11, v9, vcc
	global_store_dword v[10:11], v7, off offset:-4
	v_mov_b32_e32 v11, s7
	v_add_co_u32_e32 v7, vcc, s6, v8
	v_add_u32_e32 v10, s0, v3
	v_addc_co_u32_e32 v8, vcc, v11, v9, vcc
	global_store_dword v[7:8], v10, off offset:-4
	s_branch .LBB5_3
.LBB5_6:
	s_endpgm
	.section	.rodata,"a",@progbits
	.p2align	6, 0x0
	.amdhsa_kernel _ZN9rocsparseL38prune_dense2csr_kernel2_device_pointerILi16ELi32EfEEv21rocsparse_index_base_iiPKT1_lS4_PS2_PKiPi
		.amdhsa_group_segment_fixed_size 0
		.amdhsa_private_segment_fixed_size 0
		.amdhsa_kernarg_size 64
		.amdhsa_user_sgpr_count 6
		.amdhsa_user_sgpr_private_segment_buffer 1
		.amdhsa_user_sgpr_dispatch_ptr 0
		.amdhsa_user_sgpr_queue_ptr 0
		.amdhsa_user_sgpr_kernarg_segment_ptr 1
		.amdhsa_user_sgpr_dispatch_id 0
		.amdhsa_user_sgpr_flat_scratch_init 0
		.amdhsa_user_sgpr_private_segment_size 0
		.amdhsa_uses_dynamic_stack 0
		.amdhsa_system_sgpr_private_segment_wavefront_offset 0
		.amdhsa_system_sgpr_workgroup_id_x 1
		.amdhsa_system_sgpr_workgroup_id_y 0
		.amdhsa_system_sgpr_workgroup_id_z 0
		.amdhsa_system_sgpr_workgroup_info 0
		.amdhsa_system_vgpr_workitem_id 0
		.amdhsa_next_free_vgpr 12
		.amdhsa_next_free_sgpr 16
		.amdhsa_reserve_vcc 1
		.amdhsa_reserve_flat_scratch 0
		.amdhsa_float_round_mode_32 0
		.amdhsa_float_round_mode_16_64 0
		.amdhsa_float_denorm_mode_32 3
		.amdhsa_float_denorm_mode_16_64 3
		.amdhsa_dx10_clamp 1
		.amdhsa_ieee_mode 1
		.amdhsa_fp16_overflow 0
		.amdhsa_exception_fp_ieee_invalid_op 0
		.amdhsa_exception_fp_denorm_src 0
		.amdhsa_exception_fp_ieee_div_zero 0
		.amdhsa_exception_fp_ieee_overflow 0
		.amdhsa_exception_fp_ieee_underflow 0
		.amdhsa_exception_fp_ieee_inexact 0
		.amdhsa_exception_int_div_zero 0
	.end_amdhsa_kernel
	.section	.text._ZN9rocsparseL38prune_dense2csr_kernel2_device_pointerILi16ELi32EfEEv21rocsparse_index_base_iiPKT1_lS4_PS2_PKiPi,"axG",@progbits,_ZN9rocsparseL38prune_dense2csr_kernel2_device_pointerILi16ELi32EfEEv21rocsparse_index_base_iiPKT1_lS4_PS2_PKiPi,comdat
.Lfunc_end5:
	.size	_ZN9rocsparseL38prune_dense2csr_kernel2_device_pointerILi16ELi32EfEEv21rocsparse_index_base_iiPKT1_lS4_PS2_PKiPi, .Lfunc_end5-_ZN9rocsparseL38prune_dense2csr_kernel2_device_pointerILi16ELi32EfEEv21rocsparse_index_base_iiPKT1_lS4_PS2_PKiPi
                                        ; -- End function
	.set _ZN9rocsparseL38prune_dense2csr_kernel2_device_pointerILi16ELi32EfEEv21rocsparse_index_base_iiPKT1_lS4_PS2_PKiPi.num_vgpr, 12
	.set _ZN9rocsparseL38prune_dense2csr_kernel2_device_pointerILi16ELi32EfEEv21rocsparse_index_base_iiPKT1_lS4_PS2_PKiPi.num_agpr, 0
	.set _ZN9rocsparseL38prune_dense2csr_kernel2_device_pointerILi16ELi32EfEEv21rocsparse_index_base_iiPKT1_lS4_PS2_PKiPi.numbered_sgpr, 16
	.set _ZN9rocsparseL38prune_dense2csr_kernel2_device_pointerILi16ELi32EfEEv21rocsparse_index_base_iiPKT1_lS4_PS2_PKiPi.num_named_barrier, 0
	.set _ZN9rocsparseL38prune_dense2csr_kernel2_device_pointerILi16ELi32EfEEv21rocsparse_index_base_iiPKT1_lS4_PS2_PKiPi.private_seg_size, 0
	.set _ZN9rocsparseL38prune_dense2csr_kernel2_device_pointerILi16ELi32EfEEv21rocsparse_index_base_iiPKT1_lS4_PS2_PKiPi.uses_vcc, 1
	.set _ZN9rocsparseL38prune_dense2csr_kernel2_device_pointerILi16ELi32EfEEv21rocsparse_index_base_iiPKT1_lS4_PS2_PKiPi.uses_flat_scratch, 0
	.set _ZN9rocsparseL38prune_dense2csr_kernel2_device_pointerILi16ELi32EfEEv21rocsparse_index_base_iiPKT1_lS4_PS2_PKiPi.has_dyn_sized_stack, 0
	.set _ZN9rocsparseL38prune_dense2csr_kernel2_device_pointerILi16ELi32EfEEv21rocsparse_index_base_iiPKT1_lS4_PS2_PKiPi.has_recursion, 0
	.set _ZN9rocsparseL38prune_dense2csr_kernel2_device_pointerILi16ELi32EfEEv21rocsparse_index_base_iiPKT1_lS4_PS2_PKiPi.has_indirect_call, 0
	.section	.AMDGPU.csdata,"",@progbits
; Kernel info:
; codeLenInByte = 408
; TotalNumSgprs: 20
; NumVgprs: 12
; ScratchSize: 0
; MemoryBound: 0
; FloatMode: 240
; IeeeMode: 1
; LDSByteSize: 0 bytes/workgroup (compile time only)
; SGPRBlocks: 2
; VGPRBlocks: 2
; NumSGPRsForWavesPerEU: 20
; NumVGPRsForWavesPerEU: 12
; Occupancy: 10
; WaveLimiterHint : 0
; COMPUTE_PGM_RSRC2:SCRATCH_EN: 0
; COMPUTE_PGM_RSRC2:USER_SGPR: 6
; COMPUTE_PGM_RSRC2:TRAP_HANDLER: 0
; COMPUTE_PGM_RSRC2:TGID_X_EN: 1
; COMPUTE_PGM_RSRC2:TGID_Y_EN: 0
; COMPUTE_PGM_RSRC2:TGID_Z_EN: 0
; COMPUTE_PGM_RSRC2:TIDIG_COMP_CNT: 0
	.section	.text._ZN9rocsparseL38prune_dense2csr_kernel2_device_pointerILi16ELi64EfEEv21rocsparse_index_base_iiPKT1_lS4_PS2_PKiPi,"axG",@progbits,_ZN9rocsparseL38prune_dense2csr_kernel2_device_pointerILi16ELi64EfEEv21rocsparse_index_base_iiPKT1_lS4_PS2_PKiPi,comdat
	.globl	_ZN9rocsparseL38prune_dense2csr_kernel2_device_pointerILi16ELi64EfEEv21rocsparse_index_base_iiPKT1_lS4_PS2_PKiPi ; -- Begin function _ZN9rocsparseL38prune_dense2csr_kernel2_device_pointerILi16ELi64EfEEv21rocsparse_index_base_iiPKT1_lS4_PS2_PKiPi
	.p2align	8
	.type	_ZN9rocsparseL38prune_dense2csr_kernel2_device_pointerILi16ELi64EfEEv21rocsparse_index_base_iiPKT1_lS4_PS2_PKiPi,@function
_ZN9rocsparseL38prune_dense2csr_kernel2_device_pointerILi16ELi64EfEEv21rocsparse_index_base_iiPKT1_lS4_PS2_PKiPi: ; @_ZN9rocsparseL38prune_dense2csr_kernel2_device_pointerILi16ELi64EfEEv21rocsparse_index_base_iiPKT1_lS4_PS2_PKiPi
; %bb.0:
	s_load_dwordx4 s[0:3], s[4:5], 0x0
	v_lshrrev_b32_e32 v1, 6, v0
	v_lshl_or_b32 v1, s6, 4, v1
	s_waitcnt lgkmcnt(0)
	v_cmp_gt_i32_e32 vcc, s1, v1
	s_and_saveexec_b64 s[6:7], vcc
	s_cbranch_execz .LBB6_6
; %bb.1:
	v_and_b32_e32 v4, 63, v0
	v_cmp_gt_i32_e32 vcc, s2, v4
	s_and_b64 exec, exec, vcc
	s_cbranch_execz .LBB6_6
; %bb.2:
	s_load_dwordx8 s[8:15], s[4:5], 0x18
	v_ashrrev_i32_e32 v2, 31, v1
	v_lshlrev_b64 v[2:3], 2, v[1:2]
	v_mbcnt_lo_u32_b32 v5, -1, 0
	v_bfrev_b32_e32 v8, 0.5
	s_waitcnt lgkmcnt(0)
	v_mov_b32_e32 v1, s15
	v_add_co_u32_e32 v0, vcc, s14, v2
	v_addc_co_u32_e32 v1, vcc, v1, v3, vcc
	global_load_dword v9, v[0:1], off
	v_mad_u64_u32 v[6:7], s[16:17], s8, v4, 0
	v_mbcnt_hi_u32_b32 v5, -1, v5
	v_lshl_or_b32 v5, v5, 2, v8
	v_mad_u64_u32 v[7:8], s[16:17], s9, v4, v[7:8]
	s_load_dwordx2 s[14:15], s[4:5], 0x10
	s_load_dwordx2 s[6:7], s[4:5], 0x38
	s_load_dword s1, s[10:11], 0x0
	v_lshlrev_b64 v[6:7], 2, v[6:7]
	v_xor_b32_e32 v0, 63, v4
	v_add_co_u32_e32 v2, vcc, v6, v2
	v_addc_co_u32_e32 v3, vcc, v7, v3, vcc
	v_lshrrev_b64 v[0:1], v0, -1
	s_waitcnt lgkmcnt(0)
	v_mov_b32_e32 v8, s15
	s_lshl_b64 s[8:9], s[8:9], 8
	v_add_co_u32_e32 v2, vcc, s14, v2
	s_mov_b64 s[4:5], 0
	v_addc_co_u32_e32 v3, vcc, v8, v3, vcc
	v_mov_b32_e32 v7, s9
	s_waitcnt vmcnt(0)
	v_subrev_u32_e32 v6, s0, v9
	s_branch .LBB6_4
.LBB6_3:                                ;   in Loop: Header=BB6_4 Depth=1
	s_or_b64 exec, exec, s[10:11]
	ds_bpermute_b32 v8, v5, v8
	v_add_u32_e32 v4, 64, v4
	v_cmp_le_i32_e32 vcc, s2, v4
	s_or_b64 s[4:5], vcc, s[4:5]
	v_add_co_u32_e32 v2, vcc, s8, v2
	s_waitcnt lgkmcnt(0)
	v_add_u32_e32 v6, v8, v6
	v_addc_co_u32_e32 v3, vcc, v3, v7, vcc
	s_andn2_b64 exec, exec, s[4:5]
	s_cbranch_execz .LBB6_6
.LBB6_4:                                ; =>This Inner Loop Header: Depth=1
	s_waitcnt vmcnt(0)
	s_barrier
	global_load_dword v9, v[2:3], off
	s_waitcnt vmcnt(0)
	v_cmp_gt_f32_e64 s[14:15], |v9|, s1
	v_and_b32_e32 v10, s14, v0
	v_and_b32_e32 v8, s15, v1
	v_bcnt_u32_b32 v10, v10, 0
	v_bcnt_u32_b32 v8, v8, v10
	s_and_saveexec_b64 s[10:11], s[14:15]
	s_cbranch_execz .LBB6_3
; %bb.5:                                ;   in Loop: Header=BB6_4 Depth=1
	v_ashrrev_i32_e32 v11, 31, v6
	v_add_co_u32_e32 v10, vcc, v6, v8
	v_addc_co_u32_e32 v11, vcc, 0, v11, vcc
	v_lshlrev_b64 v[10:11], 2, v[10:11]
	v_mov_b32_e32 v13, s13
	v_add_co_u32_e32 v12, vcc, s12, v10
	v_addc_co_u32_e32 v13, vcc, v13, v11, vcc
	global_store_dword v[12:13], v9, off offset:-4
	v_mov_b32_e32 v13, s7
	v_add_co_u32_e32 v9, vcc, s6, v10
	v_add_u32_e32 v12, s0, v4
	v_addc_co_u32_e32 v10, vcc, v13, v11, vcc
	global_store_dword v[9:10], v12, off offset:-4
	s_branch .LBB6_3
.LBB6_6:
	s_endpgm
	.section	.rodata,"a",@progbits
	.p2align	6, 0x0
	.amdhsa_kernel _ZN9rocsparseL38prune_dense2csr_kernel2_device_pointerILi16ELi64EfEEv21rocsparse_index_base_iiPKT1_lS4_PS2_PKiPi
		.amdhsa_group_segment_fixed_size 0
		.amdhsa_private_segment_fixed_size 0
		.amdhsa_kernarg_size 64
		.amdhsa_user_sgpr_count 6
		.amdhsa_user_sgpr_private_segment_buffer 1
		.amdhsa_user_sgpr_dispatch_ptr 0
		.amdhsa_user_sgpr_queue_ptr 0
		.amdhsa_user_sgpr_kernarg_segment_ptr 1
		.amdhsa_user_sgpr_dispatch_id 0
		.amdhsa_user_sgpr_flat_scratch_init 0
		.amdhsa_user_sgpr_private_segment_size 0
		.amdhsa_uses_dynamic_stack 0
		.amdhsa_system_sgpr_private_segment_wavefront_offset 0
		.amdhsa_system_sgpr_workgroup_id_x 1
		.amdhsa_system_sgpr_workgroup_id_y 0
		.amdhsa_system_sgpr_workgroup_id_z 0
		.amdhsa_system_sgpr_workgroup_info 0
		.amdhsa_system_vgpr_workitem_id 0
		.amdhsa_next_free_vgpr 14
		.amdhsa_next_free_sgpr 18
		.amdhsa_reserve_vcc 1
		.amdhsa_reserve_flat_scratch 0
		.amdhsa_float_round_mode_32 0
		.amdhsa_float_round_mode_16_64 0
		.amdhsa_float_denorm_mode_32 3
		.amdhsa_float_denorm_mode_16_64 3
		.amdhsa_dx10_clamp 1
		.amdhsa_ieee_mode 1
		.amdhsa_fp16_overflow 0
		.amdhsa_exception_fp_ieee_invalid_op 0
		.amdhsa_exception_fp_denorm_src 0
		.amdhsa_exception_fp_ieee_div_zero 0
		.amdhsa_exception_fp_ieee_overflow 0
		.amdhsa_exception_fp_ieee_underflow 0
		.amdhsa_exception_fp_ieee_inexact 0
		.amdhsa_exception_int_div_zero 0
	.end_amdhsa_kernel
	.section	.text._ZN9rocsparseL38prune_dense2csr_kernel2_device_pointerILi16ELi64EfEEv21rocsparse_index_base_iiPKT1_lS4_PS2_PKiPi,"axG",@progbits,_ZN9rocsparseL38prune_dense2csr_kernel2_device_pointerILi16ELi64EfEEv21rocsparse_index_base_iiPKT1_lS4_PS2_PKiPi,comdat
.Lfunc_end6:
	.size	_ZN9rocsparseL38prune_dense2csr_kernel2_device_pointerILi16ELi64EfEEv21rocsparse_index_base_iiPKT1_lS4_PS2_PKiPi, .Lfunc_end6-_ZN9rocsparseL38prune_dense2csr_kernel2_device_pointerILi16ELi64EfEEv21rocsparse_index_base_iiPKT1_lS4_PS2_PKiPi
                                        ; -- End function
	.set _ZN9rocsparseL38prune_dense2csr_kernel2_device_pointerILi16ELi64EfEEv21rocsparse_index_base_iiPKT1_lS4_PS2_PKiPi.num_vgpr, 14
	.set _ZN9rocsparseL38prune_dense2csr_kernel2_device_pointerILi16ELi64EfEEv21rocsparse_index_base_iiPKT1_lS4_PS2_PKiPi.num_agpr, 0
	.set _ZN9rocsparseL38prune_dense2csr_kernel2_device_pointerILi16ELi64EfEEv21rocsparse_index_base_iiPKT1_lS4_PS2_PKiPi.numbered_sgpr, 18
	.set _ZN9rocsparseL38prune_dense2csr_kernel2_device_pointerILi16ELi64EfEEv21rocsparse_index_base_iiPKT1_lS4_PS2_PKiPi.num_named_barrier, 0
	.set _ZN9rocsparseL38prune_dense2csr_kernel2_device_pointerILi16ELi64EfEEv21rocsparse_index_base_iiPKT1_lS4_PS2_PKiPi.private_seg_size, 0
	.set _ZN9rocsparseL38prune_dense2csr_kernel2_device_pointerILi16ELi64EfEEv21rocsparse_index_base_iiPKT1_lS4_PS2_PKiPi.uses_vcc, 1
	.set _ZN9rocsparseL38prune_dense2csr_kernel2_device_pointerILi16ELi64EfEEv21rocsparse_index_base_iiPKT1_lS4_PS2_PKiPi.uses_flat_scratch, 0
	.set _ZN9rocsparseL38prune_dense2csr_kernel2_device_pointerILi16ELi64EfEEv21rocsparse_index_base_iiPKT1_lS4_PS2_PKiPi.has_dyn_sized_stack, 0
	.set _ZN9rocsparseL38prune_dense2csr_kernel2_device_pointerILi16ELi64EfEEv21rocsparse_index_base_iiPKT1_lS4_PS2_PKiPi.has_recursion, 0
	.set _ZN9rocsparseL38prune_dense2csr_kernel2_device_pointerILi16ELi64EfEEv21rocsparse_index_base_iiPKT1_lS4_PS2_PKiPi.has_indirect_call, 0
	.section	.AMDGPU.csdata,"",@progbits
; Kernel info:
; codeLenInByte = 412
; TotalNumSgprs: 22
; NumVgprs: 14
; ScratchSize: 0
; MemoryBound: 0
; FloatMode: 240
; IeeeMode: 1
; LDSByteSize: 0 bytes/workgroup (compile time only)
; SGPRBlocks: 2
; VGPRBlocks: 3
; NumSGPRsForWavesPerEU: 22
; NumVGPRsForWavesPerEU: 14
; Occupancy: 10
; WaveLimiterHint : 0
; COMPUTE_PGM_RSRC2:SCRATCH_EN: 0
; COMPUTE_PGM_RSRC2:USER_SGPR: 6
; COMPUTE_PGM_RSRC2:TRAP_HANDLER: 0
; COMPUTE_PGM_RSRC2:TGID_X_EN: 1
; COMPUTE_PGM_RSRC2:TGID_Y_EN: 0
; COMPUTE_PGM_RSRC2:TGID_Z_EN: 0
; COMPUTE_PGM_RSRC2:TIDIG_COMP_CNT: 0
	.section	.text._ZN9rocsparseL38prune_dense2csr_kernel2_device_pointerILi8ELi32EdEEv21rocsparse_index_base_iiPKT1_lS4_PS2_PKiPi,"axG",@progbits,_ZN9rocsparseL38prune_dense2csr_kernel2_device_pointerILi8ELi32EdEEv21rocsparse_index_base_iiPKT1_lS4_PS2_PKiPi,comdat
	.globl	_ZN9rocsparseL38prune_dense2csr_kernel2_device_pointerILi8ELi32EdEEv21rocsparse_index_base_iiPKT1_lS4_PS2_PKiPi ; -- Begin function _ZN9rocsparseL38prune_dense2csr_kernel2_device_pointerILi8ELi32EdEEv21rocsparse_index_base_iiPKT1_lS4_PS2_PKiPi
	.p2align	8
	.type	_ZN9rocsparseL38prune_dense2csr_kernel2_device_pointerILi8ELi32EdEEv21rocsparse_index_base_iiPKT1_lS4_PS2_PKiPi,@function
_ZN9rocsparseL38prune_dense2csr_kernel2_device_pointerILi8ELi32EdEEv21rocsparse_index_base_iiPKT1_lS4_PS2_PKiPi: ; @_ZN9rocsparseL38prune_dense2csr_kernel2_device_pointerILi8ELi32EdEEv21rocsparse_index_base_iiPKT1_lS4_PS2_PKiPi
; %bb.0:
	s_load_dwordx4 s[0:3], s[4:5], 0x0
	v_lshrrev_b32_e32 v1, 5, v0
	v_lshl_or_b32 v1, s6, 3, v1
	s_waitcnt lgkmcnt(0)
	v_cmp_gt_i32_e32 vcc, s1, v1
	s_and_saveexec_b64 s[6:7], vcc
	s_cbranch_execz .LBB7_6
; %bb.1:
	v_and_b32_e32 v4, 31, v0
	v_cmp_gt_i32_e32 vcc, s2, v4
	s_and_b64 exec, exec, vcc
	s_cbranch_execz .LBB7_6
; %bb.2:
	s_load_dwordx8 s[8:15], s[4:5], 0x18
	v_ashrrev_i32_e32 v2, 31, v1
	v_lshlrev_b64 v[5:6], 2, v[1:2]
	v_mbcnt_lo_u32_b32 v3, -1, 0
	s_waitcnt lgkmcnt(0)
	v_mov_b32_e32 v0, s15
	v_add_co_u32_e32 v5, vcc, s14, v5
	v_addc_co_u32_e32 v6, vcc, v0, v6, vcc
	global_load_dword v9, v[5:6], off
	v_xor_b32_e32 v0, 31, v4
	s_load_dwordx2 s[14:15], s[4:5], 0x10
	s_load_dwordx2 s[6:7], s[4:5], 0x38
	v_lshrrev_b32_e64 v5, v0, -1
	v_mbcnt_hi_u32_b32 v6, -1, v3
	v_lshlrev_b64 v[0:1], 3, v[1:2]
	v_mad_u64_u32 v[2:3], s[4:5], s8, v4, 0
	v_lshlrev_b32_e32 v6, 2, v6
	v_and_b32_e32 v6, 0x100, v6
	v_mad_u64_u32 v[7:8], s[4:5], s9, v4, v[3:4]
	s_load_dwordx2 s[4:5], s[10:11], 0x0
	s_waitcnt lgkmcnt(0)
	v_mov_b32_e32 v8, s15
	v_mov_b32_e32 v3, v7
	v_lshlrev_b64 v[2:3], 3, v[2:3]
	v_or_b32_e32 v6, 0x7c, v6
	v_add_co_u32_e32 v0, vcc, v2, v0
	v_addc_co_u32_e32 v1, vcc, v3, v1, vcc
	v_add_co_u32_e32 v0, vcc, s14, v0
	s_lshl_b64 s[8:9], s[8:9], 8
	v_addc_co_u32_e32 v1, vcc, v8, v1, vcc
	s_mov_b64 s[10:11], 0
	s_waitcnt vmcnt(0)
	v_subrev_u32_e32 v7, s0, v9
	s_branch .LBB7_4
.LBB7_3:                                ;   in Loop: Header=BB7_4 Depth=1
	s_or_b64 exec, exec, s[14:15]
	ds_bpermute_b32 v2, v6, v8
	v_add_u32_e32 v4, 32, v4
	v_cmp_le_i32_e32 vcc, s2, v4
	v_mov_b32_e32 v3, s9
	s_or_b64 s[10:11], vcc, s[10:11]
	v_add_co_u32_e32 v0, vcc, s8, v0
	s_waitcnt lgkmcnt(0)
	v_add_u32_e32 v7, v2, v7
	v_addc_co_u32_e32 v1, vcc, v1, v3, vcc
	s_andn2_b64 exec, exec, s[10:11]
	s_cbranch_execz .LBB7_6
.LBB7_4:                                ; =>This Inner Loop Header: Depth=1
	s_waitcnt vmcnt(0)
	s_barrier
	global_load_dwordx2 v[2:3], v[0:1], off
	s_waitcnt vmcnt(0)
	v_cmp_gt_f64_e64 s[16:17], |v[2:3]|, s[4:5]
	v_and_b32_e32 v8, s16, v5
	v_bcnt_u32_b32 v8, v8, 0
	s_and_saveexec_b64 s[14:15], s[16:17]
	s_cbranch_execz .LBB7_3
; %bb.5:                                ;   in Loop: Header=BB7_4 Depth=1
	v_ashrrev_i32_e32 v10, 31, v7
	v_add_co_u32_e32 v9, vcc, v7, v8
	v_addc_co_u32_e32 v10, vcc, 0, v10, vcc
	v_lshlrev_b64 v[11:12], 3, v[9:10]
	v_mov_b32_e32 v13, s13
	v_add_co_u32_e32 v11, vcc, s12, v11
	v_addc_co_u32_e32 v12, vcc, v13, v12, vcc
	global_store_dwordx2 v[11:12], v[2:3], off offset:-8
	v_lshlrev_b64 v[2:3], 2, v[9:10]
	v_mov_b32_e32 v9, s7
	v_add_co_u32_e32 v2, vcc, s6, v2
	v_add_u32_e32 v11, s0, v4
	v_addc_co_u32_e32 v3, vcc, v9, v3, vcc
	global_store_dword v[2:3], v11, off offset:-4
	s_branch .LBB7_3
.LBB7_6:
	s_endpgm
	.section	.rodata,"a",@progbits
	.p2align	6, 0x0
	.amdhsa_kernel _ZN9rocsparseL38prune_dense2csr_kernel2_device_pointerILi8ELi32EdEEv21rocsparse_index_base_iiPKT1_lS4_PS2_PKiPi
		.amdhsa_group_segment_fixed_size 0
		.amdhsa_private_segment_fixed_size 0
		.amdhsa_kernarg_size 64
		.amdhsa_user_sgpr_count 6
		.amdhsa_user_sgpr_private_segment_buffer 1
		.amdhsa_user_sgpr_dispatch_ptr 0
		.amdhsa_user_sgpr_queue_ptr 0
		.amdhsa_user_sgpr_kernarg_segment_ptr 1
		.amdhsa_user_sgpr_dispatch_id 0
		.amdhsa_user_sgpr_flat_scratch_init 0
		.amdhsa_user_sgpr_private_segment_size 0
		.amdhsa_uses_dynamic_stack 0
		.amdhsa_system_sgpr_private_segment_wavefront_offset 0
		.amdhsa_system_sgpr_workgroup_id_x 1
		.amdhsa_system_sgpr_workgroup_id_y 0
		.amdhsa_system_sgpr_workgroup_id_z 0
		.amdhsa_system_sgpr_workgroup_info 0
		.amdhsa_system_vgpr_workitem_id 0
		.amdhsa_next_free_vgpr 14
		.amdhsa_next_free_sgpr 18
		.amdhsa_reserve_vcc 1
		.amdhsa_reserve_flat_scratch 0
		.amdhsa_float_round_mode_32 0
		.amdhsa_float_round_mode_16_64 0
		.amdhsa_float_denorm_mode_32 3
		.amdhsa_float_denorm_mode_16_64 3
		.amdhsa_dx10_clamp 1
		.amdhsa_ieee_mode 1
		.amdhsa_fp16_overflow 0
		.amdhsa_exception_fp_ieee_invalid_op 0
		.amdhsa_exception_fp_denorm_src 0
		.amdhsa_exception_fp_ieee_div_zero 0
		.amdhsa_exception_fp_ieee_overflow 0
		.amdhsa_exception_fp_ieee_underflow 0
		.amdhsa_exception_fp_ieee_inexact 0
		.amdhsa_exception_int_div_zero 0
	.end_amdhsa_kernel
	.section	.text._ZN9rocsparseL38prune_dense2csr_kernel2_device_pointerILi8ELi32EdEEv21rocsparse_index_base_iiPKT1_lS4_PS2_PKiPi,"axG",@progbits,_ZN9rocsparseL38prune_dense2csr_kernel2_device_pointerILi8ELi32EdEEv21rocsparse_index_base_iiPKT1_lS4_PS2_PKiPi,comdat
.Lfunc_end7:
	.size	_ZN9rocsparseL38prune_dense2csr_kernel2_device_pointerILi8ELi32EdEEv21rocsparse_index_base_iiPKT1_lS4_PS2_PKiPi, .Lfunc_end7-_ZN9rocsparseL38prune_dense2csr_kernel2_device_pointerILi8ELi32EdEEv21rocsparse_index_base_iiPKT1_lS4_PS2_PKiPi
                                        ; -- End function
	.set _ZN9rocsparseL38prune_dense2csr_kernel2_device_pointerILi8ELi32EdEEv21rocsparse_index_base_iiPKT1_lS4_PS2_PKiPi.num_vgpr, 14
	.set _ZN9rocsparseL38prune_dense2csr_kernel2_device_pointerILi8ELi32EdEEv21rocsparse_index_base_iiPKT1_lS4_PS2_PKiPi.num_agpr, 0
	.set _ZN9rocsparseL38prune_dense2csr_kernel2_device_pointerILi8ELi32EdEEv21rocsparse_index_base_iiPKT1_lS4_PS2_PKiPi.numbered_sgpr, 18
	.set _ZN9rocsparseL38prune_dense2csr_kernel2_device_pointerILi8ELi32EdEEv21rocsparse_index_base_iiPKT1_lS4_PS2_PKiPi.num_named_barrier, 0
	.set _ZN9rocsparseL38prune_dense2csr_kernel2_device_pointerILi8ELi32EdEEv21rocsparse_index_base_iiPKT1_lS4_PS2_PKiPi.private_seg_size, 0
	.set _ZN9rocsparseL38prune_dense2csr_kernel2_device_pointerILi8ELi32EdEEv21rocsparse_index_base_iiPKT1_lS4_PS2_PKiPi.uses_vcc, 1
	.set _ZN9rocsparseL38prune_dense2csr_kernel2_device_pointerILi8ELi32EdEEv21rocsparse_index_base_iiPKT1_lS4_PS2_PKiPi.uses_flat_scratch, 0
	.set _ZN9rocsparseL38prune_dense2csr_kernel2_device_pointerILi8ELi32EdEEv21rocsparse_index_base_iiPKT1_lS4_PS2_PKiPi.has_dyn_sized_stack, 0
	.set _ZN9rocsparseL38prune_dense2csr_kernel2_device_pointerILi8ELi32EdEEv21rocsparse_index_base_iiPKT1_lS4_PS2_PKiPi.has_recursion, 0
	.set _ZN9rocsparseL38prune_dense2csr_kernel2_device_pointerILi8ELi32EdEEv21rocsparse_index_base_iiPKT1_lS4_PS2_PKiPi.has_indirect_call, 0
	.section	.AMDGPU.csdata,"",@progbits
; Kernel info:
; codeLenInByte = 428
; TotalNumSgprs: 22
; NumVgprs: 14
; ScratchSize: 0
; MemoryBound: 0
; FloatMode: 240
; IeeeMode: 1
; LDSByteSize: 0 bytes/workgroup (compile time only)
; SGPRBlocks: 2
; VGPRBlocks: 3
; NumSGPRsForWavesPerEU: 22
; NumVGPRsForWavesPerEU: 14
; Occupancy: 10
; WaveLimiterHint : 0
; COMPUTE_PGM_RSRC2:SCRATCH_EN: 0
; COMPUTE_PGM_RSRC2:USER_SGPR: 6
; COMPUTE_PGM_RSRC2:TRAP_HANDLER: 0
; COMPUTE_PGM_RSRC2:TGID_X_EN: 1
; COMPUTE_PGM_RSRC2:TGID_Y_EN: 0
; COMPUTE_PGM_RSRC2:TGID_Z_EN: 0
; COMPUTE_PGM_RSRC2:TIDIG_COMP_CNT: 0
	.section	.text._ZN9rocsparseL38prune_dense2csr_kernel2_device_pointerILi8ELi64EdEEv21rocsparse_index_base_iiPKT1_lS4_PS2_PKiPi,"axG",@progbits,_ZN9rocsparseL38prune_dense2csr_kernel2_device_pointerILi8ELi64EdEEv21rocsparse_index_base_iiPKT1_lS4_PS2_PKiPi,comdat
	.globl	_ZN9rocsparseL38prune_dense2csr_kernel2_device_pointerILi8ELi64EdEEv21rocsparse_index_base_iiPKT1_lS4_PS2_PKiPi ; -- Begin function _ZN9rocsparseL38prune_dense2csr_kernel2_device_pointerILi8ELi64EdEEv21rocsparse_index_base_iiPKT1_lS4_PS2_PKiPi
	.p2align	8
	.type	_ZN9rocsparseL38prune_dense2csr_kernel2_device_pointerILi8ELi64EdEEv21rocsparse_index_base_iiPKT1_lS4_PS2_PKiPi,@function
_ZN9rocsparseL38prune_dense2csr_kernel2_device_pointerILi8ELi64EdEEv21rocsparse_index_base_iiPKT1_lS4_PS2_PKiPi: ; @_ZN9rocsparseL38prune_dense2csr_kernel2_device_pointerILi8ELi64EdEEv21rocsparse_index_base_iiPKT1_lS4_PS2_PKiPi
; %bb.0:
	s_load_dwordx4 s[0:3], s[4:5], 0x0
	v_lshrrev_b32_e32 v1, 6, v0
	v_lshl_or_b32 v2, s6, 3, v1
	s_waitcnt lgkmcnt(0)
	v_cmp_gt_i32_e32 vcc, s1, v2
	s_and_saveexec_b64 s[6:7], vcc
	s_cbranch_execz .LBB8_6
; %bb.1:
	v_and_b32_e32 v6, 63, v0
	v_cmp_gt_i32_e32 vcc, s2, v6
	s_and_b64 exec, exec, vcc
	s_cbranch_execz .LBB8_6
; %bb.2:
	s_load_dwordx8 s[8:15], s[4:5], 0x18
	v_ashrrev_i32_e32 v3, 31, v2
	v_lshlrev_b64 v[0:1], 2, v[2:3]
	v_mbcnt_lo_u32_b32 v7, -1, 0
	v_bfrev_b32_e32 v8, 0.5
	s_waitcnt lgkmcnt(0)
	v_mov_b32_e32 v4, s15
	v_add_co_u32_e32 v0, vcc, s14, v0
	v_addc_co_u32_e32 v1, vcc, v4, v1, vcc
	global_load_dword v10, v[0:1], off
	s_load_dwordx2 s[14:15], s[4:5], 0x10
	s_load_dwordx2 s[6:7], s[4:5], 0x38
	v_mad_u64_u32 v[4:5], s[4:5], s8, v6, 0
	v_mbcnt_hi_u32_b32 v7, -1, v7
	v_lshl_or_b32 v7, v7, 2, v8
	v_mad_u64_u32 v[8:9], s[4:5], s9, v6, v[5:6]
	v_lshlrev_b64 v[2:3], 3, v[2:3]
	s_load_dwordx2 s[4:5], s[10:11], 0x0
	v_mov_b32_e32 v5, v8
	v_lshlrev_b64 v[4:5], 3, v[4:5]
	v_xor_b32_e32 v0, 63, v6
	v_add_co_u32_e32 v2, vcc, v4, v2
	v_addc_co_u32_e32 v3, vcc, v5, v3, vcc
	v_lshrrev_b64 v[0:1], v0, -1
	s_waitcnt lgkmcnt(0)
	v_mov_b32_e32 v9, s15
	v_add_co_u32_e32 v2, vcc, s14, v2
	s_lshl_b64 s[8:9], s[8:9], 9
	v_addc_co_u32_e32 v3, vcc, v9, v3, vcc
	s_mov_b64 s[10:11], 0
	s_waitcnt vmcnt(0)
	v_subrev_u32_e32 v8, s0, v10
	s_branch .LBB8_4
.LBB8_3:                                ;   in Loop: Header=BB8_4 Depth=1
	s_or_b64 exec, exec, s[14:15]
	ds_bpermute_b32 v4, v7, v9
	v_add_u32_e32 v6, 64, v6
	v_cmp_le_i32_e32 vcc, s2, v6
	v_mov_b32_e32 v5, s9
	s_or_b64 s[10:11], vcc, s[10:11]
	v_add_co_u32_e32 v2, vcc, s8, v2
	s_waitcnt lgkmcnt(0)
	v_add_u32_e32 v8, v4, v8
	v_addc_co_u32_e32 v3, vcc, v3, v5, vcc
	s_andn2_b64 exec, exec, s[10:11]
	s_cbranch_execz .LBB8_6
.LBB8_4:                                ; =>This Inner Loop Header: Depth=1
	s_waitcnt vmcnt(0)
	s_barrier
	global_load_dwordx2 v[4:5], v[2:3], off
	s_waitcnt vmcnt(0)
	v_cmp_gt_f64_e64 s[16:17], |v[4:5]|, s[4:5]
	v_and_b32_e32 v10, s16, v0
	v_and_b32_e32 v9, s17, v1
	v_bcnt_u32_b32 v10, v10, 0
	v_bcnt_u32_b32 v9, v9, v10
	s_and_saveexec_b64 s[14:15], s[16:17]
	s_cbranch_execz .LBB8_3
; %bb.5:                                ;   in Loop: Header=BB8_4 Depth=1
	v_ashrrev_i32_e32 v11, 31, v8
	v_add_co_u32_e32 v10, vcc, v8, v9
	v_addc_co_u32_e32 v11, vcc, 0, v11, vcc
	v_lshlrev_b64 v[12:13], 3, v[10:11]
	v_mov_b32_e32 v14, s13
	v_add_co_u32_e32 v12, vcc, s12, v12
	v_addc_co_u32_e32 v13, vcc, v14, v13, vcc
	global_store_dwordx2 v[12:13], v[4:5], off offset:-8
	v_lshlrev_b64 v[4:5], 2, v[10:11]
	v_mov_b32_e32 v10, s7
	v_add_co_u32_e32 v4, vcc, s6, v4
	v_add_u32_e32 v12, s0, v6
	v_addc_co_u32_e32 v5, vcc, v10, v5, vcc
	global_store_dword v[4:5], v12, off offset:-4
	s_branch .LBB8_3
.LBB8_6:
	s_endpgm
	.section	.rodata,"a",@progbits
	.p2align	6, 0x0
	.amdhsa_kernel _ZN9rocsparseL38prune_dense2csr_kernel2_device_pointerILi8ELi64EdEEv21rocsparse_index_base_iiPKT1_lS4_PS2_PKiPi
		.amdhsa_group_segment_fixed_size 0
		.amdhsa_private_segment_fixed_size 0
		.amdhsa_kernarg_size 64
		.amdhsa_user_sgpr_count 6
		.amdhsa_user_sgpr_private_segment_buffer 1
		.amdhsa_user_sgpr_dispatch_ptr 0
		.amdhsa_user_sgpr_queue_ptr 0
		.amdhsa_user_sgpr_kernarg_segment_ptr 1
		.amdhsa_user_sgpr_dispatch_id 0
		.amdhsa_user_sgpr_flat_scratch_init 0
		.amdhsa_user_sgpr_private_segment_size 0
		.amdhsa_uses_dynamic_stack 0
		.amdhsa_system_sgpr_private_segment_wavefront_offset 0
		.amdhsa_system_sgpr_workgroup_id_x 1
		.amdhsa_system_sgpr_workgroup_id_y 0
		.amdhsa_system_sgpr_workgroup_id_z 0
		.amdhsa_system_sgpr_workgroup_info 0
		.amdhsa_system_vgpr_workitem_id 0
		.amdhsa_next_free_vgpr 15
		.amdhsa_next_free_sgpr 18
		.amdhsa_reserve_vcc 1
		.amdhsa_reserve_flat_scratch 0
		.amdhsa_float_round_mode_32 0
		.amdhsa_float_round_mode_16_64 0
		.amdhsa_float_denorm_mode_32 3
		.amdhsa_float_denorm_mode_16_64 3
		.amdhsa_dx10_clamp 1
		.amdhsa_ieee_mode 1
		.amdhsa_fp16_overflow 0
		.amdhsa_exception_fp_ieee_invalid_op 0
		.amdhsa_exception_fp_denorm_src 0
		.amdhsa_exception_fp_ieee_div_zero 0
		.amdhsa_exception_fp_ieee_overflow 0
		.amdhsa_exception_fp_ieee_underflow 0
		.amdhsa_exception_fp_ieee_inexact 0
		.amdhsa_exception_int_div_zero 0
	.end_amdhsa_kernel
	.section	.text._ZN9rocsparseL38prune_dense2csr_kernel2_device_pointerILi8ELi64EdEEv21rocsparse_index_base_iiPKT1_lS4_PS2_PKiPi,"axG",@progbits,_ZN9rocsparseL38prune_dense2csr_kernel2_device_pointerILi8ELi64EdEEv21rocsparse_index_base_iiPKT1_lS4_PS2_PKiPi,comdat
.Lfunc_end8:
	.size	_ZN9rocsparseL38prune_dense2csr_kernel2_device_pointerILi8ELi64EdEEv21rocsparse_index_base_iiPKT1_lS4_PS2_PKiPi, .Lfunc_end8-_ZN9rocsparseL38prune_dense2csr_kernel2_device_pointerILi8ELi64EdEEv21rocsparse_index_base_iiPKT1_lS4_PS2_PKiPi
                                        ; -- End function
	.set _ZN9rocsparseL38prune_dense2csr_kernel2_device_pointerILi8ELi64EdEEv21rocsparse_index_base_iiPKT1_lS4_PS2_PKiPi.num_vgpr, 15
	.set _ZN9rocsparseL38prune_dense2csr_kernel2_device_pointerILi8ELi64EdEEv21rocsparse_index_base_iiPKT1_lS4_PS2_PKiPi.num_agpr, 0
	.set _ZN9rocsparseL38prune_dense2csr_kernel2_device_pointerILi8ELi64EdEEv21rocsparse_index_base_iiPKT1_lS4_PS2_PKiPi.numbered_sgpr, 18
	.set _ZN9rocsparseL38prune_dense2csr_kernel2_device_pointerILi8ELi64EdEEv21rocsparse_index_base_iiPKT1_lS4_PS2_PKiPi.num_named_barrier, 0
	.set _ZN9rocsparseL38prune_dense2csr_kernel2_device_pointerILi8ELi64EdEEv21rocsparse_index_base_iiPKT1_lS4_PS2_PKiPi.private_seg_size, 0
	.set _ZN9rocsparseL38prune_dense2csr_kernel2_device_pointerILi8ELi64EdEEv21rocsparse_index_base_iiPKT1_lS4_PS2_PKiPi.uses_vcc, 1
	.set _ZN9rocsparseL38prune_dense2csr_kernel2_device_pointerILi8ELi64EdEEv21rocsparse_index_base_iiPKT1_lS4_PS2_PKiPi.uses_flat_scratch, 0
	.set _ZN9rocsparseL38prune_dense2csr_kernel2_device_pointerILi8ELi64EdEEv21rocsparse_index_base_iiPKT1_lS4_PS2_PKiPi.has_dyn_sized_stack, 0
	.set _ZN9rocsparseL38prune_dense2csr_kernel2_device_pointerILi8ELi64EdEEv21rocsparse_index_base_iiPKT1_lS4_PS2_PKiPi.has_recursion, 0
	.set _ZN9rocsparseL38prune_dense2csr_kernel2_device_pointerILi8ELi64EdEEv21rocsparse_index_base_iiPKT1_lS4_PS2_PKiPi.has_indirect_call, 0
	.section	.AMDGPU.csdata,"",@progbits
; Kernel info:
; codeLenInByte = 432
; TotalNumSgprs: 22
; NumVgprs: 15
; ScratchSize: 0
; MemoryBound: 0
; FloatMode: 240
; IeeeMode: 1
; LDSByteSize: 0 bytes/workgroup (compile time only)
; SGPRBlocks: 2
; VGPRBlocks: 3
; NumSGPRsForWavesPerEU: 22
; NumVGPRsForWavesPerEU: 15
; Occupancy: 10
; WaveLimiterHint : 0
; COMPUTE_PGM_RSRC2:SCRATCH_EN: 0
; COMPUTE_PGM_RSRC2:USER_SGPR: 6
; COMPUTE_PGM_RSRC2:TRAP_HANDLER: 0
; COMPUTE_PGM_RSRC2:TGID_X_EN: 1
; COMPUTE_PGM_RSRC2:TGID_Y_EN: 0
; COMPUTE_PGM_RSRC2:TGID_Z_EN: 0
; COMPUTE_PGM_RSRC2:TIDIG_COMP_CNT: 0
	.section	.AMDGPU.gpr_maximums,"",@progbits
	.set amdgpu.max_num_vgpr, 0
	.set amdgpu.max_num_agpr, 0
	.set amdgpu.max_num_sgpr, 0
	.section	.AMDGPU.csdata,"",@progbits
	.type	__hip_cuid_139b41c5cc55a9ea,@object ; @__hip_cuid_139b41c5cc55a9ea
	.section	.bss,"aw",@nobits
	.globl	__hip_cuid_139b41c5cc55a9ea
__hip_cuid_139b41c5cc55a9ea:
	.byte	0                               ; 0x0
	.size	__hip_cuid_139b41c5cc55a9ea, 1

	.ident	"AMD clang version 22.0.0git (https://github.com/RadeonOpenCompute/llvm-project roc-7.2.4 26084 f58b06dce1f9c15707c5f808fd002e18c2accf7e)"
	.section	".note.GNU-stack","",@progbits
	.addrsig
	.addrsig_sym __hip_cuid_139b41c5cc55a9ea
	.amdgpu_metadata
---
amdhsa.kernels:
  - .args:
      - .offset:         0
        .size:           4
        .value_kind:     by_value
      - .actual_access:  read_only
        .address_space:  global
        .offset:         8
        .size:           8
        .value_kind:     global_buffer
      - .actual_access:  write_only
        .address_space:  global
        .offset:         16
        .size:           8
        .value_kind:     global_buffer
    .group_segment_fixed_size: 0
    .kernarg_segment_align: 8
    .kernarg_segment_size: 24
    .language:       OpenCL C
    .language_version:
      - 2
      - 0
    .max_flat_workgroup_size: 1
    .name:           _ZN9rocsparseL23nnz_total_device_kernelEiPKiPi
    .private_segment_fixed_size: 0
    .sgpr_count:     12
    .sgpr_spill_count: 0
    .symbol:         _ZN9rocsparseL23nnz_total_device_kernelEiPKiPi.kd
    .uniform_work_group_size: 1
    .uses_dynamic_stack: false
    .vgpr_count:     2
    .vgpr_spill_count: 0
    .wavefront_size: 64
  - .args:
      - .offset:         0
        .size:           4
        .value_kind:     by_value
      - .offset:         4
        .size:           4
        .value_kind:     by_value
      - .address_space:  global
        .offset:         8
        .size:           8
        .value_kind:     global_buffer
      - .offset:         16
        .size:           8
        .value_kind:     by_value
      - .address_space:  global
        .offset:         24
        .size:           8
        .value_kind:     global_buffer
    .group_segment_fixed_size: 0
    .kernarg_segment_align: 8
    .kernarg_segment_size: 32
    .language:       OpenCL C
    .language_version:
      - 2
      - 0
    .max_flat_workgroup_size: 256
    .name:           _ZN9rocsparseL10abs_kernelILi256EfEEviiPKT0_lPS1_
    .private_segment_fixed_size: 0
    .sgpr_count:     16
    .sgpr_spill_count: 0
    .symbol:         _ZN9rocsparseL10abs_kernelILi256EfEEviiPKT0_lPS1_.kd
    .uniform_work_group_size: 1
    .uses_dynamic_stack: false
    .vgpr_count:     7
    .vgpr_spill_count: 0
    .wavefront_size: 64
  - .args:
      - .offset:         0
        .size:           4
        .value_kind:     by_value
      - .offset:         4
        .size:           4
        .value_kind:     by_value
      - .actual_access:  read_only
        .address_space:  global
        .offset:         8
        .size:           8
        .value_kind:     global_buffer
      - .offset:         16
        .size:           8
        .value_kind:     by_value
      - .address_space:  global
        .offset:         24
        .size:           8
        .value_kind:     global_buffer
      - .actual_access:  write_only
        .address_space:  global
        .offset:         32
        .size:           8
        .value_kind:     global_buffer
      - .offset:         40
        .size:           4
        .value_kind:     hidden_block_count_x
      - .offset:         44
        .size:           4
        .value_kind:     hidden_block_count_y
      - .offset:         48
        .size:           4
        .value_kind:     hidden_block_count_z
      - .offset:         52
        .size:           2
        .value_kind:     hidden_group_size_x
      - .offset:         54
        .size:           2
        .value_kind:     hidden_group_size_y
      - .offset:         56
        .size:           2
        .value_kind:     hidden_group_size_z
      - .offset:         58
        .size:           2
        .value_kind:     hidden_remainder_x
      - .offset:         60
        .size:           2
        .value_kind:     hidden_remainder_y
      - .offset:         62
        .size:           2
        .value_kind:     hidden_remainder_z
      - .offset:         80
        .size:           8
        .value_kind:     hidden_global_offset_x
      - .offset:         88
        .size:           8
        .value_kind:     hidden_global_offset_y
      - .offset:         96
        .size:           8
        .value_kind:     hidden_global_offset_z
      - .offset:         104
        .size:           2
        .value_kind:     hidden_grid_dims
    .group_segment_fixed_size: 16384
    .kernarg_segment_align: 8
    .kernarg_segment_size: 296
    .language:       OpenCL C
    .language_version:
      - 2
      - 0
    .max_flat_workgroup_size: 1024
    .name:           _ZN9rocsparseL27prune_dense2csr_nnz_kernel2ILi64ELi16EfEEviiPKT1_lS3_Pi
    .private_segment_fixed_size: 0
    .sgpr_count:     31
    .sgpr_spill_count: 0
    .symbol:         _ZN9rocsparseL27prune_dense2csr_nnz_kernel2ILi64ELi16EfEEviiPKT1_lS3_Pi.kd
    .uniform_work_group_size: 1
    .uses_dynamic_stack: false
    .vgpr_count:     24
    .vgpr_spill_count: 0
    .wavefront_size: 64
  - .args:
      - .offset:         0
        .size:           4
        .value_kind:     by_value
      - .offset:         4
        .size:           4
        .value_kind:     by_value
      - .address_space:  global
        .offset:         8
        .size:           8
        .value_kind:     global_buffer
      - .offset:         16
        .size:           8
        .value_kind:     by_value
      - .address_space:  global
        .offset:         24
        .size:           8
        .value_kind:     global_buffer
    .group_segment_fixed_size: 0
    .kernarg_segment_align: 8
    .kernarg_segment_size: 32
    .language:       OpenCL C
    .language_version:
      - 2
      - 0
    .max_flat_workgroup_size: 256
    .name:           _ZN9rocsparseL10abs_kernelILi256EdEEviiPKT0_lPS1_
    .private_segment_fixed_size: 0
    .sgpr_count:     16
    .sgpr_spill_count: 0
    .symbol:         _ZN9rocsparseL10abs_kernelILi256EdEEviiPKT0_lPS1_.kd
    .uniform_work_group_size: 1
    .uses_dynamic_stack: false
    .vgpr_count:     7
    .vgpr_spill_count: 0
    .wavefront_size: 64
  - .args:
      - .offset:         0
        .size:           4
        .value_kind:     by_value
      - .offset:         4
        .size:           4
        .value_kind:     by_value
      - .actual_access:  read_only
        .address_space:  global
        .offset:         8
        .size:           8
        .value_kind:     global_buffer
      - .offset:         16
        .size:           8
        .value_kind:     by_value
      - .address_space:  global
        .offset:         24
        .size:           8
        .value_kind:     global_buffer
      - .actual_access:  write_only
        .address_space:  global
        .offset:         32
        .size:           8
        .value_kind:     global_buffer
      - .offset:         40
        .size:           4
        .value_kind:     hidden_block_count_x
      - .offset:         44
        .size:           4
        .value_kind:     hidden_block_count_y
      - .offset:         48
        .size:           4
        .value_kind:     hidden_block_count_z
      - .offset:         52
        .size:           2
        .value_kind:     hidden_group_size_x
      - .offset:         54
        .size:           2
        .value_kind:     hidden_group_size_y
      - .offset:         56
        .size:           2
        .value_kind:     hidden_group_size_z
      - .offset:         58
        .size:           2
        .value_kind:     hidden_remainder_x
      - .offset:         60
        .size:           2
        .value_kind:     hidden_remainder_y
      - .offset:         62
        .size:           2
        .value_kind:     hidden_remainder_z
      - .offset:         80
        .size:           8
        .value_kind:     hidden_global_offset_x
      - .offset:         88
        .size:           8
        .value_kind:     hidden_global_offset_y
      - .offset:         96
        .size:           8
        .value_kind:     hidden_global_offset_z
      - .offset:         104
        .size:           2
        .value_kind:     hidden_grid_dims
    .group_segment_fixed_size: 16384
    .kernarg_segment_align: 8
    .kernarg_segment_size: 296
    .language:       OpenCL C
    .language_version:
      - 2
      - 0
    .max_flat_workgroup_size: 1024
    .name:           _ZN9rocsparseL27prune_dense2csr_nnz_kernel2ILi64ELi16EdEEviiPKT1_lS3_Pi
    .private_segment_fixed_size: 0
    .sgpr_count:     32
    .sgpr_spill_count: 0
    .symbol:         _ZN9rocsparseL27prune_dense2csr_nnz_kernel2ILi64ELi16EdEEviiPKT1_lS3_Pi.kd
    .uniform_work_group_size: 1
    .uses_dynamic_stack: false
    .vgpr_count:     27
    .vgpr_spill_count: 0
    .wavefront_size: 64
  - .args:
      - .offset:         0
        .size:           4
        .value_kind:     by_value
      - .offset:         4
        .size:           4
        .value_kind:     by_value
      - .offset:         8
        .size:           4
        .value_kind:     by_value
      - .actual_access:  read_only
        .address_space:  global
        .offset:         16
        .size:           8
        .value_kind:     global_buffer
      - .offset:         24
        .size:           8
        .value_kind:     by_value
      - .address_space:  global
        .offset:         32
        .size:           8
        .value_kind:     global_buffer
      - .actual_access:  write_only
        .address_space:  global
        .offset:         40
        .size:           8
        .value_kind:     global_buffer
      - .actual_access:  read_only
        .address_space:  global
        .offset:         48
        .size:           8
        .value_kind:     global_buffer
      - .actual_access:  write_only
        .address_space:  global
        .offset:         56
        .size:           8
        .value_kind:     global_buffer
    .group_segment_fixed_size: 0
    .kernarg_segment_align: 8
    .kernarg_segment_size: 64
    .language:       OpenCL C
    .language_version:
      - 2
      - 0
    .max_flat_workgroup_size: 512
    .name:           _ZN9rocsparseL38prune_dense2csr_kernel2_device_pointerILi16ELi32EfEEv21rocsparse_index_base_iiPKT1_lS4_PS2_PKiPi
    .private_segment_fixed_size: 0
    .sgpr_count:     20
    .sgpr_spill_count: 0
    .symbol:         _ZN9rocsparseL38prune_dense2csr_kernel2_device_pointerILi16ELi32EfEEv21rocsparse_index_base_iiPKT1_lS4_PS2_PKiPi.kd
    .uniform_work_group_size: 1
    .uses_dynamic_stack: false
    .vgpr_count:     12
    .vgpr_spill_count: 0
    .wavefront_size: 64
  - .args:
      - .offset:         0
        .size:           4
        .value_kind:     by_value
      - .offset:         4
        .size:           4
        .value_kind:     by_value
      - .offset:         8
        .size:           4
        .value_kind:     by_value
      - .actual_access:  read_only
        .address_space:  global
        .offset:         16
        .size:           8
        .value_kind:     global_buffer
      - .offset:         24
        .size:           8
        .value_kind:     by_value
      - .address_space:  global
        .offset:         32
        .size:           8
        .value_kind:     global_buffer
      - .actual_access:  write_only
        .address_space:  global
        .offset:         40
        .size:           8
        .value_kind:     global_buffer
      - .actual_access:  read_only
        .address_space:  global
        .offset:         48
        .size:           8
        .value_kind:     global_buffer
      - .actual_access:  write_only
        .address_space:  global
        .offset:         56
        .size:           8
        .value_kind:     global_buffer
    .group_segment_fixed_size: 0
    .kernarg_segment_align: 8
    .kernarg_segment_size: 64
    .language:       OpenCL C
    .language_version:
      - 2
      - 0
    .max_flat_workgroup_size: 1024
    .name:           _ZN9rocsparseL38prune_dense2csr_kernel2_device_pointerILi16ELi64EfEEv21rocsparse_index_base_iiPKT1_lS4_PS2_PKiPi
    .private_segment_fixed_size: 0
    .sgpr_count:     22
    .sgpr_spill_count: 0
    .symbol:         _ZN9rocsparseL38prune_dense2csr_kernel2_device_pointerILi16ELi64EfEEv21rocsparse_index_base_iiPKT1_lS4_PS2_PKiPi.kd
    .uniform_work_group_size: 1
    .uses_dynamic_stack: false
    .vgpr_count:     14
    .vgpr_spill_count: 0
    .wavefront_size: 64
  - .args:
      - .offset:         0
        .size:           4
        .value_kind:     by_value
      - .offset:         4
        .size:           4
        .value_kind:     by_value
      - .offset:         8
        .size:           4
        .value_kind:     by_value
      - .actual_access:  read_only
        .address_space:  global
        .offset:         16
        .size:           8
        .value_kind:     global_buffer
      - .offset:         24
        .size:           8
        .value_kind:     by_value
      - .address_space:  global
        .offset:         32
        .size:           8
        .value_kind:     global_buffer
      - .actual_access:  write_only
        .address_space:  global
        .offset:         40
        .size:           8
        .value_kind:     global_buffer
      - .actual_access:  read_only
        .address_space:  global
        .offset:         48
        .size:           8
        .value_kind:     global_buffer
      - .actual_access:  write_only
        .address_space:  global
        .offset:         56
        .size:           8
        .value_kind:     global_buffer
    .group_segment_fixed_size: 0
    .kernarg_segment_align: 8
    .kernarg_segment_size: 64
    .language:       OpenCL C
    .language_version:
      - 2
      - 0
    .max_flat_workgroup_size: 256
    .name:           _ZN9rocsparseL38prune_dense2csr_kernel2_device_pointerILi8ELi32EdEEv21rocsparse_index_base_iiPKT1_lS4_PS2_PKiPi
    .private_segment_fixed_size: 0
    .sgpr_count:     22
    .sgpr_spill_count: 0
    .symbol:         _ZN9rocsparseL38prune_dense2csr_kernel2_device_pointerILi8ELi32EdEEv21rocsparse_index_base_iiPKT1_lS4_PS2_PKiPi.kd
    .uniform_work_group_size: 1
    .uses_dynamic_stack: false
    .vgpr_count:     14
    .vgpr_spill_count: 0
    .wavefront_size: 64
  - .args:
      - .offset:         0
        .size:           4
        .value_kind:     by_value
      - .offset:         4
        .size:           4
        .value_kind:     by_value
      - .offset:         8
        .size:           4
        .value_kind:     by_value
      - .actual_access:  read_only
        .address_space:  global
        .offset:         16
        .size:           8
        .value_kind:     global_buffer
      - .offset:         24
        .size:           8
        .value_kind:     by_value
      - .address_space:  global
        .offset:         32
        .size:           8
        .value_kind:     global_buffer
      - .actual_access:  write_only
        .address_space:  global
        .offset:         40
        .size:           8
        .value_kind:     global_buffer
      - .actual_access:  read_only
        .address_space:  global
        .offset:         48
        .size:           8
        .value_kind:     global_buffer
      - .actual_access:  write_only
        .address_space:  global
        .offset:         56
        .size:           8
        .value_kind:     global_buffer
    .group_segment_fixed_size: 0
    .kernarg_segment_align: 8
    .kernarg_segment_size: 64
    .language:       OpenCL C
    .language_version:
      - 2
      - 0
    .max_flat_workgroup_size: 512
    .name:           _ZN9rocsparseL38prune_dense2csr_kernel2_device_pointerILi8ELi64EdEEv21rocsparse_index_base_iiPKT1_lS4_PS2_PKiPi
    .private_segment_fixed_size: 0
    .sgpr_count:     22
    .sgpr_spill_count: 0
    .symbol:         _ZN9rocsparseL38prune_dense2csr_kernel2_device_pointerILi8ELi64EdEEv21rocsparse_index_base_iiPKT1_lS4_PS2_PKiPi.kd
    .uniform_work_group_size: 1
    .uses_dynamic_stack: false
    .vgpr_count:     15
    .vgpr_spill_count: 0
    .wavefront_size: 64
amdhsa.target:   amdgcn-amd-amdhsa--gfx906
amdhsa.version:
  - 1
  - 2
...

	.end_amdgpu_metadata
